;; amdgpu-corpus repo=ROCm/rocFFT kind=compiled arch=gfx950 opt=O3
	.text
	.amdgcn_target "amdgcn-amd-amdhsa--gfx950"
	.amdhsa_code_object_version 6
	.protected	bluestein_single_fwd_len2304_dim1_half_op_CI_CI ; -- Begin function bluestein_single_fwd_len2304_dim1_half_op_CI_CI
	.globl	bluestein_single_fwd_len2304_dim1_half_op_CI_CI
	.p2align	8
	.type	bluestein_single_fwd_len2304_dim1_half_op_CI_CI,@function
bluestein_single_fwd_len2304_dim1_half_op_CI_CI: ; @bluestein_single_fwd_len2304_dim1_half_op_CI_CI
; %bb.0:
	s_load_dwordx4 s[4:7], s[0:1], 0x28
	v_mul_u32_u24_e32 v1, 0x156, v0
	v_add_u32_sdwa v44, s2, v1 dst_sel:DWORD dst_unused:UNUSED_PAD src0_sel:DWORD src1_sel:WORD_1
	v_mov_b32_e32 v45, 0
	s_waitcnt lgkmcnt(0)
	v_cmp_gt_u64_e32 vcc, s[4:5], v[44:45]
	s_and_saveexec_b64 s[2:3], vcc
	s_cbranch_execz .LBB0_2
; %bb.1:
	s_load_dwordx4 s[16:19], s[0:1], 0x18
	s_load_dwordx4 s[8:11], s[0:1], 0x0
	s_movk_i32 s2, 0xc0
	v_mov_b32_e32 v2, s6
	v_mov_b32_e32 v3, s7
	s_waitcnt lgkmcnt(0)
	s_load_dwordx4 s[12:15], s[16:17], 0x0
	v_mul_lo_u16_sdwa v1, v1, s2 dst_sel:DWORD dst_unused:UNUSED_PAD src0_sel:WORD_1 src1_sel:DWORD
	s_load_dwordx4 s[4:7], s[18:19], 0x0
	v_sub_u16_e32 v46, v0, v1
	v_mov_b32_e32 v23, 0x600
	s_waitcnt lgkmcnt(0)
	v_mad_u64_u32 v[4:5], s[2:3], s14, v44, 0
	v_mov_b32_e32 v6, v5
	v_mad_u64_u32 v[6:7], s[2:3], s15, v44, v[6:7]
	v_mad_u64_u32 v[0:1], s[2:3], s12, v46, 0
	v_mov_b32_e32 v5, v6
	v_mov_b32_e32 v6, v1
	v_mad_u64_u32 v[6:7], s[2:3], s13, v46, v[6:7]
	v_mov_b32_e32 v1, v6
	v_lshl_add_u64 v[2:3], v[4:5], 2, v[2:3]
	v_mad_u64_u32 v[48:49], s[2:3], s6, v44, 0
	v_lshl_add_u64 v[0:1], v[0:1], 2, v[2:3]
	v_mov_b32_e32 v4, v49
	global_load_dword v12, v[0:1], off
	v_mad_u64_u32 v[50:51], s[2:3], s7, v44, v[4:5]
	v_lshlrev_b32_e32 v44, 2, v46
	global_load_dword v62, v44, s[8:9]
	v_mad_u64_u32 v[0:1], s[2:3], s12, v23, v[0:1]
	s_mul_i32 s15, s13, 0x600
	v_or_b32_e32 v59, 0x300, v46
	v_add_u32_e32 v1, s15, v1
	v_mad_u64_u32 v[6:7], s[2:3], s12, v59, 0
	global_load_dword v13, v[0:1], off
	global_load_dword v61, v44, s[8:9] offset:1536
	v_mov_b32_e32 v8, v7
	v_mad_u64_u32 v[8:9], s[2:3], s13, v59, v[8:9]
	v_mov_b32_e32 v7, v8
	v_lshl_add_u64 v[6:7], v[6:7], 2, v[2:3]
	global_load_dword v14, v[6:7], off
	global_load_dword v60, v44, s[8:9] offset:3072
	v_mov_b32_e32 v53, 0xc00
	v_lshl_add_u64 v[4:5], s[8:9], 0, v[44:45]
	v_mad_u64_u32 v[0:1], s[2:3], s12, v53, v[0:1]
	s_mul_i32 s16, s13, 0xc00
	s_movk_i32 s14, 0x1000
	v_or_b32_e32 v56, 0x600, v46
	v_add_u32_e32 v1, s16, v1
	v_add_co_u32_e32 v6, vcc, s14, v4
	v_mad_u64_u32 v[8:9], s[2:3], s12, v56, 0
	s_nop 0
	v_addc_co_u32_e32 v7, vcc, 0, v5, vcc
	global_load_dword v15, v[0:1], off
	v_mov_b32_e32 v10, v9
	global_load_dword v58, v[6:7], off offset:512
	v_mad_u64_u32 v[10:11], s[2:3], s13, v56, v[10:11]
	v_mov_b32_e32 v9, v10
	v_lshl_add_u64 v[2:3], v[8:9], 2, v[2:3]
	global_load_dword v2, v[2:3], off
	v_lshlrev_b32_e32 v63, 2, v56
	global_load_dword v57, v63, s[8:9]
	v_mad_u64_u32 v[0:1], s[6:7], s12, v53, v[0:1]
	v_add_u32_e32 v1, s16, v1
	global_load_dword v3, v[0:1], off
	global_load_dword v55, v[6:7], off offset:3584
	v_mov_b32_e32 v52, 0xffffe500
	v_mad_u64_u32 v[0:1], s[6:7], s12, v52, v[0:1]
	s_add_u32 s2, s8, 0x2400
	s_mul_i32 s6, s13, 0xffffe500
	s_addc_u32 s3, s9, 0
	s_sub_i32 s6, s6, s12
	v_add_u32_e32 v1, s6, v1
	global_load_dword v8, v[0:1], off
	global_load_dword v43, v44, s[8:9] offset:3840
	global_load_dword v51, v44, s[8:9] offset:2304
	;; [unrolled: 1-line block ×3, first 2 shown]
	v_mad_u64_u32 v[0:1], s[6:7], s12, v23, v[0:1]
	v_add_u32_e32 v1, s15, v1
	global_load_dword v9, v[0:1], off
	v_mad_u64_u32 v[0:1], s[8:9], s12, v23, v[0:1]
	v_add_u32_e32 v1, s15, v1
	global_load_dword v10, v[0:1], off
	;; [unrolled: 3-line block ×3, first 2 shown]
	global_load_dword v39, v[6:7], off offset:1280
	v_mad_u64_u32 v[0:1], s[8:9], s12, v23, v[0:1]
	v_add_u32_e32 v1, s15, v1
	global_load_dword v17, v[0:1], off
	global_load_dword v35, v[6:7], off offset:2816
	v_mad_u64_u32 v[0:1], s[8:9], s12, v23, v[0:1]
	v_add_u32_e32 v1, s15, v1
	s_movk_i32 s9, 0x2000
	global_load_dword v6, v[0:1], off
	v_add_co_u32_e32 v0, vcc, s9, v4
	s_mov_b32 s7, 0
	s_nop 0
	v_addc_co_u32_e32 v1, vcc, 0, v5, vcc
	global_load_dword v31, v[0:1], off offset:256
	s_waitcnt vmcnt(23)
	v_lshrrev_b32_e32 v11, 16, v12
	s_waitcnt vmcnt(22)
	v_mul_f16_sdwa v0, v62, v11 dst_sel:DWORD dst_unused:UNUSED_PAD src0_sel:WORD_1 src1_sel:DWORD
	v_mul_f16_sdwa v1, v62, v12 dst_sel:DWORD dst_unused:UNUSED_PAD src0_sel:WORD_1 src1_sel:DWORD
	v_fma_f16 v0, v62, v12, v0
	v_fma_f16 v1, v62, v11, -v1
	v_pack_b32_f16 v0, v0, v1
	v_mov_b32_e32 v47, s7
	s_movk_i32 s7, 0x3aee
	s_waitcnt vmcnt(21)
	v_lshrrev_b32_e32 v1, 16, v13
	s_waitcnt vmcnt(20)
	v_mul_f16_sdwa v4, v61, v1 dst_sel:DWORD dst_unused:UNUSED_PAD src0_sel:WORD_1 src1_sel:DWORD
	v_mul_f16_sdwa v5, v61, v13 dst_sel:DWORD dst_unused:UNUSED_PAD src0_sel:WORD_1 src1_sel:DWORD
	v_fma_f16 v4, v61, v13, v4
	v_fma_f16 v1, v61, v1, -v5
	v_pack_b32_f16 v1, v4, v1
	ds_write_b32 v44, v1 offset:1536
	s_waitcnt vmcnt(19)
	v_lshrrev_b32_e32 v1, 16, v14
	s_waitcnt vmcnt(18)
	v_mul_f16_sdwa v4, v60, v1 dst_sel:DWORD dst_unused:UNUSED_PAD src0_sel:WORD_1 src1_sel:DWORD
	v_mul_f16_sdwa v5, v60, v14 dst_sel:DWORD dst_unused:UNUSED_PAD src0_sel:WORD_1 src1_sel:DWORD
	v_fma_f16 v4, v60, v14, v4
	v_fma_f16 v1, v60, v1, -v5
	v_pack_b32_f16 v1, v4, v1
	ds_write_b32 v44, v1 offset:3072
	s_mov_b32 s6, 0xffff
	s_mov_b32 s8, 0xbaee3aee
	s_mov_b64 s[12:13], 0xc0
	v_lshl_add_u64 v[24:25], v[46:47], 0, s[12:13]
	v_mul_u32_u24_e32 v12, 6, v24
	v_lshlrev_b32_e32 v49, 2, v12
	s_mov_b32 s15, 0xe38f
	s_load_dwordx2 s[0:1], s[0:1], 0x38
	s_waitcnt vmcnt(17)
	v_lshrrev_b32_e32 v1, 16, v15
	s_waitcnt vmcnt(16)
	v_mul_f16_sdwa v4, v58, v1 dst_sel:DWORD dst_unused:UNUSED_PAD src0_sel:WORD_1 src1_sel:DWORD
	v_mul_f16_sdwa v5, v58, v15 dst_sel:DWORD dst_unused:UNUSED_PAD src0_sel:WORD_1 src1_sel:DWORD
	v_fma_f16 v4, v58, v15, v4
	v_fma_f16 v1, v58, v1, -v5
	v_pack_b32_f16 v1, v4, v1
	ds_write_b32 v44, v1 offset:4608
	s_waitcnt vmcnt(15)
	v_lshrrev_b32_e32 v1, 16, v2
	s_waitcnt vmcnt(14)
	v_mul_f16_sdwa v4, v57, v1 dst_sel:DWORD dst_unused:UNUSED_PAD src0_sel:WORD_1 src1_sel:DWORD
	v_fma_f16 v4, v57, v2, v4
	v_mul_f16_sdwa v2, v57, v2 dst_sel:DWORD dst_unused:UNUSED_PAD src0_sel:WORD_1 src1_sel:DWORD
	v_fma_f16 v1, v57, v1, -v2
	v_pack_b32_f16 v1, v4, v1
	ds_write_b32 v44, v1 offset:6144
	s_waitcnt vmcnt(13)
	v_lshrrev_b32_e32 v1, 16, v3
	s_waitcnt vmcnt(12)
	v_mul_f16_sdwa v2, v55, v1 dst_sel:DWORD dst_unused:UNUSED_PAD src0_sel:WORD_1 src1_sel:DWORD
	v_fma_f16 v2, v55, v3, v2
	v_mul_f16_sdwa v3, v55, v3 dst_sel:DWORD dst_unused:UNUSED_PAD src0_sel:WORD_1 src1_sel:DWORD
	v_fma_f16 v1, v55, v1, -v3
	v_pack_b32_f16 v1, v2, v1
	ds_write_b32 v44, v1 offset:7680
	s_waitcnt vmcnt(11)
	v_lshrrev_b32_e32 v1, 16, v8
	s_waitcnt vmcnt(8)
	v_mul_f16_sdwa v2, v54, v1 dst_sel:DWORD dst_unused:UNUSED_PAD src0_sel:WORD_1 src1_sel:DWORD
	v_mul_f16_sdwa v3, v54, v8 dst_sel:DWORD dst_unused:UNUSED_PAD src0_sel:WORD_1 src1_sel:DWORD
	v_fma_f16 v2, v54, v8, v2
	v_fma_f16 v1, v54, v1, -v3
	v_pack_b32_f16 v1, v2, v1
	ds_write2st64_b32 v44, v0, v1 offset1:3
	s_waitcnt vmcnt(7)
	v_lshrrev_b32_e32 v0, 16, v9
	v_mul_f16_sdwa v1, v51, v0 dst_sel:DWORD dst_unused:UNUSED_PAD src0_sel:WORD_1 src1_sel:DWORD
	v_mul_f16_sdwa v2, v51, v9 dst_sel:DWORD dst_unused:UNUSED_PAD src0_sel:WORD_1 src1_sel:DWORD
	v_fma_f16 v1, v51, v9, v1
	v_fma_f16 v0, v51, v0, -v2
	v_pack_b32_f16 v0, v1, v0
	ds_write_b32 v44, v0 offset:2304
	s_waitcnt vmcnt(6)
	v_lshrrev_b32_e32 v0, 16, v10
	v_mul_f16_sdwa v1, v43, v0 dst_sel:DWORD dst_unused:UNUSED_PAD src0_sel:WORD_1 src1_sel:DWORD
	v_mul_f16_sdwa v2, v43, v10 dst_sel:DWORD dst_unused:UNUSED_PAD src0_sel:WORD_1 src1_sel:DWORD
	v_fma_f16 v1, v43, v10, v1
	v_fma_f16 v0, v43, v0, -v2
	v_pack_b32_f16 v0, v1, v0
	ds_write_b32 v44, v0 offset:3840
	s_waitcnt vmcnt(5)
	v_lshrrev_b32_e32 v0, 16, v16
	s_waitcnt vmcnt(4)
	v_mul_f16_sdwa v1, v39, v0 dst_sel:DWORD dst_unused:UNUSED_PAD src0_sel:WORD_1 src1_sel:DWORD
	v_mul_f16_sdwa v2, v39, v16 dst_sel:DWORD dst_unused:UNUSED_PAD src0_sel:WORD_1 src1_sel:DWORD
	v_fma_f16 v1, v39, v16, v1
	v_fma_f16 v0, v39, v0, -v2
	v_pack_b32_f16 v0, v1, v0
	ds_write_b32 v44, v0 offset:5376
	s_waitcnt vmcnt(3)
	v_lshrrev_b32_e32 v0, 16, v17
	s_waitcnt vmcnt(2)
	v_mul_f16_sdwa v1, v35, v0 dst_sel:DWORD dst_unused:UNUSED_PAD src0_sel:WORD_1 src1_sel:DWORD
	v_mul_f16_sdwa v2, v35, v17 dst_sel:DWORD dst_unused:UNUSED_PAD src0_sel:WORD_1 src1_sel:DWORD
	v_fma_f16 v1, v35, v17, v1
	v_fma_f16 v0, v35, v0, -v2
	v_pack_b32_f16 v0, v1, v0
	ds_write_b32 v44, v0 offset:6912
	s_waitcnt vmcnt(1)
	v_lshrrev_b32_e32 v0, 16, v6
	s_waitcnt vmcnt(0)
	v_mul_f16_sdwa v1, v31, v0 dst_sel:DWORD dst_unused:UNUSED_PAD src0_sel:WORD_1 src1_sel:DWORD
	v_mul_f16_sdwa v2, v31, v6 dst_sel:DWORD dst_unused:UNUSED_PAD src0_sel:WORD_1 src1_sel:DWORD
	v_fma_f16 v1, v31, v6, v1
	v_fma_f16 v0, v31, v0, -v2
	v_pack_b32_f16 v0, v1, v0
	ds_write_b32 v44, v0 offset:8448
	v_mul_lo_u16_e32 v0, 6, v46
	s_waitcnt lgkmcnt(0)
	s_barrier
	v_lshlrev_b32_e32 v65, 2, v0
	ds_read2st64_b32 v[0:1], v44 offset1:3
	ds_read2st64_b32 v[2:3], v44 offset0:6 offset1:9
	ds_read2st64_b32 v[4:5], v44 offset0:12 offset1:15
	;; [unrolled: 1-line block ×5, first 2 shown]
	s_waitcnt lgkmcnt(0)
	v_pk_add_f16 v14, v0, v4
	v_pk_add_f16 v16, v4, v6
	;; [unrolled: 1-line block ×3, first 2 shown]
	v_pk_fma_f16 v0, v16, 0.5, v0 op_sel_hi:[1,0,1] neg_lo:[1,0,0] neg_hi:[1,0,0]
	v_pk_add_f16 v16, v8, v10
	v_pk_add_f16 v14, v2, v8
	v_pk_fma_f16 v2, v16, 0.5, v2 op_sel_hi:[1,0,1] neg_lo:[1,0,0] neg_hi:[1,0,0]
	v_pk_add_f16 v8, v8, v10 neg_lo:[0,1] neg_hi:[0,1]
	v_pk_add_f16 v17, v14, v10
	v_pk_fma_f16 v10, v8, s7, v2 op_sel:[0,0,1] op_sel_hi:[1,0,0]
	v_pk_fma_f16 v2, v8, s7, v2 op_sel:[0,0,1] op_sel_hi:[1,0,0] neg_lo:[1,0,0] neg_hi:[1,0,0]
	v_lshrrev_b32_e32 v16, 16, v10
	v_bfi_b32 v8, s6, v10, v2
	v_mul_f16_e32 v10, 0x3aee, v2
	v_pk_add_f16 v4, v4, v6 neg_lo:[0,1] neg_hi:[0,1]
	v_fma_f16 v10, v16, 0.5, v10
	v_mul_f16_e32 v16, 0xbaee, v16
	v_pk_mul_f16 v4, v4, s7 op_sel_hi:[1,0]
	v_fma_f16 v2, v2, 0.5, v16
	v_pk_mul_f16 v16, v8, 0.5 op_sel_hi:[1,0]
	v_pk_add_f16 v6, v0, v4 op_sel:[0,1] op_sel_hi:[1,0]
	v_pk_add_f16 v0, v0, v4 op_sel:[0,1] op_sel_hi:[1,0] neg_lo:[0,1] neg_hi:[0,1]
	v_pk_fma_f16 v8, v8, s8, v16 op_sel:[0,0,1] op_sel_hi:[1,1,0] neg_lo:[0,0,1] neg_hi:[0,0,1]
	v_bfi_b32 v4, s6, v0, v6
	v_add_f16_e32 v19, v6, v10
	v_add_f16_sdwa v20, v0, v2 dst_sel:DWORD dst_unused:UNUSED_PAD src0_sel:WORD_1 src1_sel:DWORD
	v_pack_b32_f16 v2, v2, v8
	v_pk_add_f16 v14, v15, v17
	v_pk_add_f16 v16, v4, v8
	v_sub_f16_e32 v4, v6, v10
	v_sub_f16_sdwa v6, v6, v8 dst_sel:DWORD dst_unused:UNUSED_PAD src0_sel:WORD_1 src1_sel:WORD_1
	v_pk_add_f16 v17, v15, v17 neg_lo:[0,1] neg_hi:[0,1]
	v_pack_b32_f16 v15, v19, v20
	v_pk_add_f16 v0, v0, v2 op_sel:[1,0] op_sel_hi:[0,1] neg_lo:[0,1] neg_hi:[0,1]
	s_barrier
	ds_write2_b64 v65, v[14:15], v[16:17] offset1:1
	v_alignbit_b32 v15, v6, v0, 16
	v_pack_b32_f16 v14, v4, v0
	v_pk_add_f16 v0, v5, v7
	v_pk_add_f16 v12, v1, v5
	v_pk_fma_f16 v0, v0, 0.5, v1 op_sel_hi:[1,0,1] neg_lo:[1,0,0] neg_hi:[1,0,0]
	v_pk_add_f16 v1, v5, v7 neg_lo:[0,1] neg_hi:[0,1]
	v_pk_add_f16 v13, v12, v7
	v_pk_mul_f16 v1, v1, s7 op_sel_hi:[1,0]
	v_pk_add_f16 v12, v3, v9
	v_pk_add_f16 v2, v0, v1 op_sel:[0,1] op_sel_hi:[1,0]
	v_pk_add_f16 v4, v0, v1 op_sel:[0,1] op_sel_hi:[1,0] neg_lo:[0,1] neg_hi:[0,1]
	v_pk_add_f16 v1, v9, v11
	v_pk_add_f16 v18, v12, v11
	v_pk_fma_f16 v1, v1, 0.5, v3 op_sel_hi:[1,0,1] neg_lo:[1,0,0] neg_hi:[1,0,0]
	v_pk_add_f16 v3, v9, v11 neg_lo:[0,1] neg_hi:[0,1]
	v_bfi_b32 v0, s6, v4, v2
	v_pk_fma_f16 v5, v3, s7, v1 op_sel:[0,0,1] op_sel_hi:[1,0,0]
	v_pk_fma_f16 v1, v3, s7, v1 op_sel:[0,0,1] op_sel_hi:[1,0,0] neg_lo:[1,0,0] neg_hi:[1,0,0]
	v_lshrrev_b32_e32 v6, 16, v5
	v_bfi_b32 v3, s6, v5, v1
	v_mul_f16_e32 v5, 0x3aee, v1
	v_fma_f16 v5, v6, 0.5, v5
	v_mul_f16_e32 v6, 0xbaee, v6
	v_fma_f16 v6, v1, 0.5, v6
	v_pk_mul_f16 v1, v3, 0.5 op_sel_hi:[1,0]
	v_add_f16_e32 v7, v2, v5
	v_add_f16_sdwa v8, v4, v6 dst_sel:DWORD dst_unused:UNUSED_PAD src0_sel:WORD_1 src1_sel:DWORD
	v_pk_fma_f16 v3, v3, s8, v1 op_sel:[0,0,1] op_sel_hi:[1,1,0] neg_lo:[0,0,1] neg_hi:[0,0,1]
	v_pk_add_f16 v12, v13, v18
	v_pk_add_f16 v0, v0, v3
	v_pk_add_f16 v1, v13, v18 neg_lo:[0,1] neg_hi:[0,1]
	v_pack_b32_f16 v13, v7, v8
	ds_write_b64 v65, v[14:15] offset:16
	ds_write2_b64 v49, v[12:13], v[0:1] offset1:1
	v_pack_b32_f16 v0, v6, v3
	v_sub_f16_e32 v5, v2, v5
	v_sub_f16_sdwa v2, v2, v3 dst_sel:DWORD dst_unused:UNUSED_PAD src0_sel:WORD_1 src1_sel:WORD_1
	v_pk_add_f16 v0, v4, v0 op_sel:[1,0] op_sel_hi:[0,1] neg_lo:[0,1] neg_hi:[0,1]
	v_alignbit_b32 v1, v2, v0, 16
	v_pack_b32_f16 v0, v5, v0
	s_movk_i32 s8, 0xab
	ds_write_b64 v49, v[0:1] offset:16
	v_mul_lo_u16_sdwa v0, v46, s8 dst_sel:DWORD dst_unused:UNUSED_PAD src0_sel:BYTE_0 src1_sel:DWORD
	v_lshrrev_b16_e32 v22, 10, v0
	v_mul_lo_u16_e32 v0, 6, v22
	v_sub_u16_e32 v0, v46, v0
	v_and_b32_e32 v25, 0xff, v0
	v_mad_u64_u32 v[4:5], s[12:13], v25, 20, s[10:11]
	s_waitcnt lgkmcnt(0)
	s_barrier
	global_load_dwordx4 v[0:3], v[4:5], off
	global_load_dword v64, v[4:5], off offset:16
	s_mov_b32 s8, 0xaaab
	v_mul_u32_u24_sdwa v4, v24, s8 dst_sel:DWORD dst_unused:UNUSED_PAD src0_sel:WORD_0 src1_sel:DWORD
	v_lshrrev_b32_e32 v30, 18, v4
	v_mul_lo_u16_e32 v4, 6, v30
	v_sub_u16_e32 v32, v24, v4
	v_mul_lo_u16_e32 v4, 20, v32
	v_mov_b32_e32 v5, v45
	v_lshl_add_u64 v[20:21], s[10:11], 0, v[4:5]
	ds_read2st64_b32 v[8:9], v44 offset1:3
	ds_read2st64_b32 v[18:19], v44 offset0:6 offset1:9
	ds_read2st64_b32 v[16:17], v44 offset0:12 offset1:15
	;; [unrolled: 1-line block ×5, first 2 shown]
	global_load_dword v66, v[20:21], off offset:16
	global_load_dwordx4 v[4:7], v[20:21], off
	s_waitcnt lgkmcnt(3)
	v_lshrrev_b32_e32 v28, 16, v16
	v_lshrrev_b32_e32 v27, 16, v18
	s_waitcnt lgkmcnt(1)
	v_lshrrev_b32_e32 v20, 16, v12
	v_lshrrev_b32_e32 v26, 16, v8
	;; [unrolled: 1-line block ×3, first 2 shown]
	s_waitcnt lgkmcnt(0)
	v_lshrrev_b32_e32 v21, 16, v10
	s_mov_b32 s8, 0xbaee
	v_mul_u32_u24_e32 v22, 36, v22
	v_add_lshl_u32 v67, v22, v25, 2
	s_barrier
	s_waitcnt vmcnt(3)
	v_mul_f16_sdwa v34, v28, v1 dst_sel:DWORD dst_unused:UNUSED_PAD src0_sel:DWORD src1_sel:WORD_1
	v_fma_f16 v34, v16, v1, -v34
	v_mul_f16_sdwa v16, v16, v1 dst_sel:DWORD dst_unused:UNUSED_PAD src0_sel:DWORD src1_sel:WORD_1
	v_fma_f16 v16, v28, v1, v16
	v_mul_f16_sdwa v28, v20, v3 dst_sel:DWORD dst_unused:UNUSED_PAD src0_sel:DWORD src1_sel:WORD_1
	v_mul_f16_sdwa v33, v18, v0 dst_sel:DWORD dst_unused:UNUSED_PAD src0_sel:DWORD src1_sel:WORD_1
	v_fma_f16 v28, v12, v3, -v28
	v_mul_f16_sdwa v12, v12, v3 dst_sel:DWORD dst_unused:UNUSED_PAD src0_sel:DWORD src1_sel:WORD_1
	v_fma_f16 v33, v27, v0, v33
	v_fma_f16 v12, v20, v3, v12
	v_add_f16_e32 v36, v26, v16
	s_waitcnt vmcnt(2)
	v_mul_f16_sdwa v37, v10, v64 dst_sel:DWORD dst_unused:UNUSED_PAD src0_sel:DWORD src1_sel:WORD_1
	v_mul_f16_sdwa v27, v27, v0 dst_sel:DWORD dst_unused:UNUSED_PAD src0_sel:DWORD src1_sel:WORD_1
	v_sub_f16_e32 v20, v16, v12
	v_add_f16_e32 v36, v36, v12
	v_add_f16_e32 v12, v16, v12
	;; [unrolled: 1-line block ×3, first 2 shown]
	v_fma_f16 v37, v21, v64, v37
	v_fma_f16 v18, v18, v0, -v27
	v_mul_f16_sdwa v27, v29, v2 dst_sel:DWORD dst_unused:UNUSED_PAD src0_sel:DWORD src1_sel:WORD_1
	v_mul_f16_sdwa v21, v21, v64 dst_sel:DWORD dst_unused:UNUSED_PAD src0_sel:DWORD src1_sel:WORD_1
	v_add_f16_e32 v16, v16, v28
	v_fma_f16 v12, v12, -0.5, v26
	v_add_f16_e32 v26, v34, v28
	v_sub_f16_e32 v28, v34, v28
	v_mul_f16_sdwa v34, v14, v2 dst_sel:DWORD dst_unused:UNUSED_PAD src0_sel:DWORD src1_sel:WORD_1
	v_fma_f16 v14, v14, v2, -v27
	v_fma_f16 v10, v10, v64, -v21
	v_fma_f16 v34, v29, v2, v34
	v_add_f16_e32 v21, v14, v10
	v_add_f16_e32 v38, v33, v34
	v_sub_f16_e32 v40, v34, v37
	v_add_f16_e32 v34, v34, v37
	v_fma_f16 v21, v21, -0.5, v18
	v_add_f16_e32 v18, v18, v14
	v_fma_f16 v33, v34, -0.5, v33
	v_add_f16_e32 v18, v18, v10
	v_sub_f16_e32 v10, v14, v10
	v_add_f16_e32 v38, v38, v37
	v_fma_f16 v27, v10, s8, v33
	v_fma_f16 v14, v40, s7, v21
	v_mul_f16_e32 v29, 0x3aee, v27
	v_add_f16_e32 v22, v16, v18
	v_add_f16_e32 v25, v36, v38
	v_fma_f16 v8, v26, -0.5, v8
	v_fma_f16 v29, v14, 0.5, v29
	v_mul_f16_e32 v14, 0xbaee, v14
	v_pack_b32_f16 v22, v22, v25
	v_fma_f16 v25, v20, s7, v8
	v_fma_f16 v8, v20, s8, v8
	;; [unrolled: 1-line block ×3, first 2 shown]
	v_fma_f16 v14, v27, 0.5, v14
	v_fma_f16 v26, v28, s8, v12
	v_fma_f16 v10, v10, s7, v33
	v_mul_f16_e32 v21, -0.5, v20
	v_add_f16_e32 v27, v25, v29
	v_add_f16_e32 v34, v26, v14
	v_fma_f16 v21, v10, s7, v21
	v_mul_f16_e32 v10, -0.5, v10
	v_pack_b32_f16 v27, v27, v34
	v_fma_f16 v12, v28, s7, v12
	v_fma_f16 v10, v20, s8, v10
	ds_write2_b32 v67, v22, v27 offset1:6
	v_sub_f16_e32 v16, v16, v18
	v_sub_f16_e32 v18, v36, v38
	v_add_f16_e32 v20, v8, v21
	v_add_f16_e32 v22, v12, v10
	v_pack_b32_f16 v20, v20, v22
	v_pack_b32_f16 v16, v16, v18
	ds_write2_b32 v67, v20, v16 offset0:12 offset1:18
	v_lshrrev_b32_e32 v16, 16, v19
	s_waitcnt vmcnt(0)
	v_mul_f16_sdwa v18, v16, v4 dst_sel:DWORD dst_unused:UNUSED_PAD src0_sel:DWORD src1_sel:WORD_1
	v_fma_f16 v18, v19, v4, -v18
	v_mul_f16_sdwa v19, v19, v4 dst_sel:DWORD dst_unused:UNUSED_PAD src0_sel:DWORD src1_sel:WORD_1
	v_fma_f16 v16, v16, v4, v19
	v_lshrrev_b32_e32 v19, 16, v17
	v_mul_f16_sdwa v20, v19, v5 dst_sel:DWORD dst_unused:UNUSED_PAD src0_sel:DWORD src1_sel:WORD_1
	v_fma_f16 v20, v17, v5, -v20
	v_mul_f16_sdwa v17, v17, v5 dst_sel:DWORD dst_unused:UNUSED_PAD src0_sel:DWORD src1_sel:WORD_1
	v_fma_f16 v17, v19, v5, v17
	v_lshrrev_b32_e32 v19, 16, v15
	;; [unrolled: 5-line block ×4, first 2 shown]
	v_mul_f16_sdwa v28, v19, v66 dst_sel:DWORD dst_unused:UNUSED_PAD src0_sel:DWORD src1_sel:WORD_1
	v_fma_f16 v28, v11, v66, -v28
	v_mul_f16_sdwa v11, v11, v66 dst_sel:DWORD dst_unused:UNUSED_PAD src0_sel:DWORD src1_sel:WORD_1
	v_sub_f16_e32 v10, v12, v10
	v_add_f16_e32 v12, v20, v27
	v_fma_f16 v11, v19, v66, v11
	v_sub_f16_e32 v19, v25, v29
	v_sub_f16_e32 v8, v8, v21
	v_fma_f16 v12, v12, -0.5, v9
	v_lshrrev_b32_e32 v21, 16, v9
	v_sub_f16_e32 v25, v17, v13
	v_sub_f16_e32 v14, v26, v14
	v_fma_f16 v26, v25, s7, v12
	v_fma_f16 v12, v25, s8, v12
	v_add_f16_e32 v25, v21, v17
	v_add_f16_e32 v25, v25, v13
	v_add_f16_e32 v13, v17, v13
	v_fma_f16 v13, v13, -0.5, v21
	v_sub_f16_e32 v17, v20, v27
	v_add_f16_e32 v9, v9, v20
	v_fma_f16 v20, v17, s8, v13
	v_fma_f16 v13, v17, s7, v13
	v_add_f16_e32 v17, v22, v28
	v_fma_f16 v17, v17, -0.5, v18
	v_sub_f16_e32 v21, v15, v11
	v_add_f16_e32 v9, v9, v27
	v_fma_f16 v27, v21, s7, v17
	v_fma_f16 v17, v21, s8, v17
	v_add_f16_e32 v21, v16, v15
	v_add_f16_e32 v21, v21, v11
	;; [unrolled: 1-line block ×3, first 2 shown]
	v_fma_f16 v11, v11, -0.5, v16
	v_sub_f16_e32 v16, v22, v28
	v_add_f16_e32 v15, v18, v22
	v_fma_f16 v18, v16, s8, v11
	v_mul_f16_e32 v22, 0xbaee, v27
	v_fma_f16 v11, v16, s7, v11
	v_mul_f16_e32 v16, 0x3aee, v18
	v_fma_f16 v18, v18, 0.5, v22
	v_mul_f16_e32 v22, -0.5, v17
	v_fma_f16 v22, v11, s7, v22
	v_mul_f16_e32 v11, -0.5, v11
	v_fma_f16 v16, v27, 0.5, v16
	v_fma_f16 v11, v17, s8, v11
	v_add_f16_e32 v15, v15, v28
	v_add_f16_e32 v27, v26, v16
	v_sub_f16_e32 v16, v26, v16
	v_add_f16_e32 v26, v12, v22
	v_sub_f16_e32 v12, v12, v22
	;; [unrolled: 2-line block ×5, first 2 shown]
	v_pack_b32_f16 v13, v19, v14
	v_pack_b32_f16 v8, v8, v10
	v_add_f16_e32 v17, v9, v15
	ds_write2_b32 v67, v13, v8 offset0:24 offset1:30
	v_mad_legacy_u16 v8, v30, 36, v32
	v_sub_f16_e32 v9, v9, v15
	v_lshlrev_b32_e32 v15, 2, v8
	v_pack_b32_f16 v8, v17, v22
	v_pack_b32_f16 v10, v27, v25
	ds_write2_b32 v15, v8, v10 offset1:6
	v_pack_b32_f16 v8, v26, v20
	v_pack_b32_f16 v9, v9, v21
	ds_write2_b32 v15, v8, v9 offset0:12 offset1:18
	v_pack_b32_f16 v8, v16, v18
	v_pack_b32_f16 v9, v12, v11
	ds_write2_b32 v15, v8, v9 offset0:24 offset1:30
	v_mov_b32_e32 v8, 57
	v_mul_lo_u16_sdwa v8, v46, v8 dst_sel:DWORD dst_unused:UNUSED_PAD src0_sel:BYTE_0 src1_sel:DWORD
	v_lshrrev_b16_e32 v11, 11, v8
	v_mul_lo_u16_e32 v8, 36, v11
	v_sub_u16_e32 v8, v46, v8
	v_and_b32_e32 v16, 0xff, v8
	v_mad_u64_u32 v[8:9], s[12:13], v16, 12, s[10:11]
	s_waitcnt lgkmcnt(0)
	s_barrier
	global_load_dwordx3 v[8:10], v[8:9], off offset:120
	v_mul_u32_u24_sdwa v25, v24, s15 dst_sel:DWORD dst_unused:UNUSED_PAD src0_sel:WORD_0 src1_sel:DWORD
	v_lshrrev_b32_e32 v19, 21, v25
	v_mul_lo_u16_e32 v12, 36, v19
	v_sub_u16_e32 v22, v24, v12
	v_mul_lo_u16_e32 v12, 12, v22
	v_mov_b32_e32 v13, v45
	v_lshl_add_u64 v[12:13], s[10:11], 0, v[12:13]
	global_load_dwordx3 v[12:14], v[12:13], off offset:120
	ds_read2st64_b32 v[20:21], v44 offset0:6 offset1:9
	ds_read2st64_b32 v[28:29], v44 offset0:18 offset1:21
	s_mov_b64 s[12:13], 0x180
	v_lshl_add_u64 v[26:27], v[46:47], 0, s[12:13]
	v_mul_u32_u24_sdwa v38, v26, s15 dst_sel:DWORD dst_unused:UNUSED_PAD src0_sel:WORD_0 src1_sel:DWORD
	v_mul_u32_u24_e32 v11, 0x90, v11
	v_lshrrev_b32_e32 v27, 21, v38
	s_waitcnt lgkmcnt(1)
	v_lshrrev_b32_e32 v17, 16, v21
	v_add_lshl_u32 v11, v11, v16, 2
	v_mul_lo_u16_e32 v16, 36, v27
	v_sub_u16_e32 v42, v26, v16
	v_mul_lo_u16_e32 v16, 12, v42
	ds_read2st64_b32 v[32:33], v44 offset0:24 offset1:27
	s_waitcnt lgkmcnt(1)
	v_lshrrev_b32_e32 v30, 16, v28
	s_movk_i32 s12, 0x90
	v_mad_legacy_u16 v19, v19, s12, v22
	v_lshlrev_b32_e32 v19, 2, v19
	v_mad_legacy_u16 v27, v27, s12, v42
	v_lshlrev_b32_e32 v27, 2, v27
	v_cmp_gt_u16_e32 vcc, s12, v46
	v_lshrrev_b32_e32 v74, 23, v38
	s_movk_i32 s12, 0x8f
	s_waitcnt vmcnt(1)
	v_mul_f16_sdwa v18, v21, v8 dst_sel:DWORD dst_unused:UNUSED_PAD src0_sel:DWORD src1_sel:WORD_1
	v_fma_f16 v34, v17, v8, v18
	v_mul_f16_sdwa v17, v17, v8 dst_sel:DWORD dst_unused:UNUSED_PAD src0_sel:DWORD src1_sel:WORD_1
	v_fma_f16 v21, v21, v8, -v17
	v_mov_b32_e32 v17, v45
	v_lshl_add_u64 v[16:17], s[10:11], 0, v[16:17]
	global_load_dwordx3 v[16:18], v[16:17], off offset:120
	v_mul_f16_sdwa v36, v28, v9 dst_sel:DWORD dst_unused:UNUSED_PAD src0_sel:DWORD src1_sel:WORD_1
	v_fma_f16 v40, v30, v9, v36
	ds_read2st64_b32 v[36:37], v44 offset1:3
	v_mul_f16_sdwa v30, v30, v9 dst_sel:DWORD dst_unused:UNUSED_PAD src0_sel:DWORD src1_sel:WORD_1
	v_fma_f16 v28, v28, v9, -v30
	s_waitcnt lgkmcnt(1)
	v_lshrrev_b32_e32 v30, 16, v33
	v_mul_f16_sdwa v41, v33, v10 dst_sel:DWORD dst_unused:UNUSED_PAD src0_sel:DWORD src1_sel:WORD_1
	v_fma_f16 v41, v30, v10, v41
	v_mul_f16_sdwa v30, v30, v10 dst_sel:DWORD dst_unused:UNUSED_PAD src0_sel:DWORD src1_sel:WORD_1
	v_fma_f16 v30, v33, v10, -v30
	s_waitcnt lgkmcnt(0)
	v_lshrrev_b32_e32 v33, 16, v36
	v_sub_f16_e32 v28, v36, v28
	v_sub_f16_e32 v40, v33, v40
	;; [unrolled: 1-line block ×4, first 2 shown]
	v_fma_f16 v33, v33, 2.0, -v40
	v_fma_f16 v21, v21, 2.0, -v30
	;; [unrolled: 1-line block ×4, first 2 shown]
	v_sub_f16_e32 v21, v36, v21
	v_sub_f16_e32 v34, v33, v34
	v_fma_f16 v36, v36, 2.0, -v21
	v_fma_f16 v33, v33, 2.0, -v34
	v_pack_b32_f16 v33, v36, v33
	v_sub_f16_e32 v36, v28, v41
	v_add_f16_e32 v30, v40, v30
	v_fma_f16 v28, v28, 2.0, -v36
	v_fma_f16 v40, v40, 2.0, -v30
	v_pack_b32_f16 v28, v28, v40
	ds_read2st64_b32 v[40:41], v44 offset0:12 offset1:15
	ds_read2st64_b32 v[68:69], v44 offset0:30 offset1:33
	s_waitcnt lgkmcnt(0)
	s_barrier
	ds_write2_b32 v11, v33, v28 offset1:36
	v_pack_b32_f16 v21, v21, v34
	v_pack_b32_f16 v28, v36, v30
	ds_write2_b32 v11, v21, v28 offset0:72 offset1:108
	v_lshrrev_b32_e32 v21, 16, v29
	s_waitcnt vmcnt(1)
	v_mul_f16_sdwa v28, v21, v13 dst_sel:DWORD dst_unused:UNUSED_PAD src0_sel:DWORD src1_sel:WORD_1
	v_lshrrev_b32_e32 v22, 16, v40
	v_mul_f16_sdwa v33, v40, v12 dst_sel:DWORD dst_unused:UNUSED_PAD src0_sel:DWORD src1_sel:WORD_1
	v_lshrrev_b32_e32 v34, 16, v68
	v_mul_f16_sdwa v36, v68, v14 dst_sel:DWORD dst_unused:UNUSED_PAD src0_sel:DWORD src1_sel:WORD_1
	v_fma_f16 v28, v29, v13, -v28
	v_mul_f16_sdwa v29, v29, v13 dst_sel:DWORD dst_unused:UNUSED_PAD src0_sel:DWORD src1_sel:WORD_1
	v_fma_f16 v33, v22, v12, v33
	v_mul_f16_sdwa v22, v22, v12 dst_sel:DWORD dst_unused:UNUSED_PAD src0_sel:DWORD src1_sel:WORD_1
	v_fma_f16 v36, v34, v14, v36
	;; [unrolled: 2-line block ×3, first 2 shown]
	v_lshrrev_b32_e32 v29, 16, v37
	v_fma_f16 v22, v40, v12, -v22
	v_fma_f16 v34, v68, v14, -v34
	v_sub_f16_e32 v28, v37, v28
	v_sub_f16_e32 v21, v29, v21
	;; [unrolled: 1-line block ×4, first 2 shown]
	v_fma_f16 v30, v37, 2.0, -v28
	v_fma_f16 v29, v29, 2.0, -v21
	;; [unrolled: 1-line block ×4, first 2 shown]
	v_sub_f16_e32 v22, v30, v22
	v_sub_f16_e32 v33, v29, v33
	v_fma_f16 v30, v30, 2.0, -v22
	v_fma_f16 v29, v29, 2.0, -v33
	v_pack_b32_f16 v29, v30, v29
	v_sub_f16_e32 v30, v28, v36
	v_add_f16_e32 v34, v21, v34
	v_fma_f16 v28, v28, 2.0, -v30
	v_fma_f16 v21, v21, 2.0, -v34
	v_pack_b32_f16 v21, v28, v21
	ds_write2_b32 v19, v29, v21 offset1:36
	v_pack_b32_f16 v21, v22, v33
	v_pack_b32_f16 v22, v30, v34
	ds_write2_b32 v19, v21, v22 offset0:72 offset1:108
	v_lshrrev_b32_e32 v21, 16, v41
	s_waitcnt vmcnt(0)
	v_mul_f16_sdwa v28, v41, v16 dst_sel:DWORD dst_unused:UNUSED_PAD src0_sel:DWORD src1_sel:WORD_1
	v_mul_f16_sdwa v22, v21, v16 dst_sel:DWORD dst_unused:UNUSED_PAD src0_sel:DWORD src1_sel:WORD_1
	v_fma_f16 v21, v21, v16, v28
	v_lshrrev_b32_e32 v28, 16, v32
	v_mul_f16_sdwa v30, v32, v17 dst_sel:DWORD dst_unused:UNUSED_PAD src0_sel:DWORD src1_sel:WORD_1
	v_mul_f16_sdwa v29, v28, v17 dst_sel:DWORD dst_unused:UNUSED_PAD src0_sel:DWORD src1_sel:WORD_1
	v_fma_f16 v28, v28, v17, v30
	v_lshrrev_b32_e32 v30, 16, v69
	v_fma_f16 v29, v32, v17, -v29
	v_mul_f16_sdwa v32, v30, v18 dst_sel:DWORD dst_unused:UNUSED_PAD src0_sel:DWORD src1_sel:WORD_1
	v_mul_f16_sdwa v33, v69, v18 dst_sel:DWORD dst_unused:UNUSED_PAD src0_sel:DWORD src1_sel:WORD_1
	v_fma_f16 v22, v41, v16, -v22
	v_fma_f16 v32, v69, v18, -v32
	v_fma_f16 v30, v30, v18, v33
	v_lshrrev_b32_e32 v33, 16, v20
	v_sub_f16_e32 v29, v20, v29
	v_sub_f16_e32 v28, v33, v28
	;; [unrolled: 1-line block ×4, first 2 shown]
	v_fma_f16 v20, v20, 2.0, -v29
	v_fma_f16 v33, v33, 2.0, -v28
	;; [unrolled: 1-line block ×4, first 2 shown]
	v_sub_f16_e32 v22, v20, v22
	v_sub_f16_e32 v21, v33, v21
	;; [unrolled: 1-line block ×3, first 2 shown]
	v_add_f16_e32 v32, v28, v32
	v_fma_f16 v20, v20, 2.0, -v22
	v_fma_f16 v33, v33, 2.0, -v21
	;; [unrolled: 1-line block ×4, first 2 shown]
	v_pack_b32_f16 v20, v20, v33
	v_pack_b32_f16 v28, v29, v28
	ds_write2_b32 v27, v20, v28 offset1:36
	v_pack_b32_f16 v20, v22, v21
	v_pack_b32_f16 v21, v30, v32
	ds_write2_b32 v27, v20, v21 offset0:72 offset1:108
	v_add_u32_e32 v20, 0xffffff70, v46
	v_cndmask_b32_e32 v28, v20, v46, vcc
	v_mul_hi_i32_i24_e32 v21, 12, v28
	v_mul_i32_i24_e32 v20, 12, v28
	v_lshl_add_u64 v[20:21], s[10:11], 0, v[20:21]
	s_waitcnt lgkmcnt(0)
	s_barrier
	global_load_dwordx3 v[20:22], v[20:21], off offset:552
	v_lshrrev_b32_e32 v30, 23, v25
	v_mul_lo_u16_e32 v25, 0x90, v30
	v_sub_u16_e32 v42, v24, v25
	v_mul_lo_u16_e32 v24, 12, v42
	v_mov_b32_e32 v25, v45
	v_lshl_add_u64 v[24:25], s[10:11], 0, v[24:25]
	global_load_dwordx3 v[32:34], v[24:25], off offset:552
	v_mul_lo_u16_e32 v24, 0x90, v74
	v_sub_u16_e32 v26, v26, v24
	ds_read2st64_b32 v[24:25], v44 offset0:6 offset1:9
	v_mov_b32_e32 v29, 0x240
	v_cmp_lt_u16_e32 vcc, s12, v46
	ds_read2st64_b32 v[40:41], v44 offset0:24 offset1:27
	s_movk_i32 s12, 0x240
	v_cndmask_b32_e32 v29, 0, v29, vcc
	v_add_lshl_u32 v47, v28, v29, 2
	ds_read2st64_b32 v[28:29], v44 offset0:18 offset1:21
	s_waitcnt lgkmcnt(2)
	v_lshrrev_b32_e32 v36, 16, v25
	s_waitcnt lgkmcnt(1)
	v_lshrrev_b32_e32 v72, 16, v41
	v_mad_legacy_u16 v30, v30, s12, v42
	s_waitcnt vmcnt(1)
	v_mul_f16_sdwa v37, v25, v20 dst_sel:DWORD dst_unused:UNUSED_PAD src0_sel:DWORD src1_sel:WORD_1
	v_fma_f16 v70, v36, v20, v37
	v_mul_f16_sdwa v36, v36, v20 dst_sel:DWORD dst_unused:UNUSED_PAD src0_sel:DWORD src1_sel:WORD_1
	v_fma_f16 v25, v25, v20, -v36
	s_waitcnt lgkmcnt(0)
	v_lshrrev_b32_e32 v36, 16, v28
	v_mul_f16_sdwa v37, v28, v21 dst_sel:DWORD dst_unused:UNUSED_PAD src0_sel:DWORD src1_sel:WORD_1
	v_fma_f16 v71, v36, v21, v37
	v_mul_f16_sdwa v68, v36, v21 dst_sel:DWORD dst_unused:UNUSED_PAD src0_sel:DWORD src1_sel:WORD_1
	v_mul_lo_u16_e32 v36, 12, v26
	v_mov_b32_e32 v37, v45
	v_lshl_add_u64 v[36:37], s[10:11], 0, v[36:37]
	global_load_dwordx3 v[36:38], v[36:37], off offset:552
	v_fma_f16 v28, v28, v21, -v68
	ds_read2st64_b32 v[68:69], v44 offset1:3
	v_mul_f16_sdwa v73, v41, v22 dst_sel:DWORD dst_unused:UNUSED_PAD src0_sel:DWORD src1_sel:WORD_1
	v_fma_f16 v73, v72, v22, v73
	v_mul_f16_sdwa v72, v72, v22 dst_sel:DWORD dst_unused:UNUSED_PAD src0_sel:DWORD src1_sel:WORD_1
	v_fma_f16 v41, v41, v22, -v72
	s_waitcnt lgkmcnt(0)
	v_lshrrev_b32_e32 v72, 16, v68
	v_sub_f16_e32 v28, v68, v28
	v_sub_f16_e32 v71, v72, v71
	;; [unrolled: 1-line block ×4, first 2 shown]
	v_fma_f16 v72, v72, 2.0, -v71
	v_fma_f16 v25, v25, 2.0, -v41
	;; [unrolled: 1-line block ×4, first 2 shown]
	v_sub_f16_e32 v25, v68, v25
	v_sub_f16_e32 v75, v72, v70
	v_fma_f16 v68, v68, 2.0, -v25
	v_fma_f16 v70, v72, 2.0, -v75
	v_sub_f16_e32 v76, v28, v73
	v_add_f16_e32 v41, v71, v41
	v_pack_b32_f16 v68, v68, v70
	v_fma_f16 v28, v28, 2.0, -v76
	v_fma_f16 v70, v71, 2.0, -v41
	v_pack_b32_f16 v28, v28, v70
	ds_read2st64_b32 v[70:71], v44 offset0:12 offset1:15
	ds_read2st64_b32 v[72:73], v44 offset0:30 offset1:33
	s_waitcnt lgkmcnt(0)
	s_barrier
	ds_write2_b32 v47, v68, v28 offset1:144
	v_pack_b32_f16 v25, v25, v75
	v_pack_b32_f16 v28, v76, v41
	v_add_u32_e32 v68, 0x400, v47
	ds_write2_b32 v68, v25, v28 offset0:32 offset1:176
	v_lshrrev_b32_e32 v25, 16, v29
	s_waitcnt vmcnt(1)
	v_mul_f16_sdwa v28, v25, v33 dst_sel:DWORD dst_unused:UNUSED_PAD src0_sel:DWORD src1_sel:WORD_1
	v_fma_f16 v28, v29, v33, -v28
	v_mul_f16_sdwa v29, v29, v33 dst_sel:DWORD dst_unused:UNUSED_PAD src0_sel:DWORD src1_sel:WORD_1
	v_sub_f16_e32 v28, v69, v28
	v_fma_f16 v25, v25, v33, v29
	v_lshrrev_b32_e32 v29, 16, v69
	v_fma_f16 v41, v69, 2.0, -v28
	v_lshrrev_b32_e32 v42, 16, v70
	v_mul_f16_sdwa v69, v70, v32 dst_sel:DWORD dst_unused:UNUSED_PAD src0_sel:DWORD src1_sel:WORD_1
	v_fma_f16 v69, v42, v32, v69
	v_mul_f16_sdwa v42, v42, v32 dst_sel:DWORD dst_unused:UNUSED_PAD src0_sel:DWORD src1_sel:WORD_1
	v_fma_f16 v42, v70, v32, -v42
	v_lshrrev_b32_e32 v70, 16, v72
	v_mul_f16_sdwa v75, v72, v34 dst_sel:DWORD dst_unused:UNUSED_PAD src0_sel:DWORD src1_sel:WORD_1
	v_fma_f16 v75, v70, v34, v75
	v_mul_f16_sdwa v70, v70, v34 dst_sel:DWORD dst_unused:UNUSED_PAD src0_sel:DWORD src1_sel:WORD_1
	v_fma_f16 v70, v72, v34, -v70
	v_sub_f16_e32 v25, v29, v25
	v_sub_f16_e32 v70, v42, v70
	;; [unrolled: 1-line block ×3, first 2 shown]
	v_fma_f16 v29, v29, 2.0, -v25
	v_fma_f16 v42, v42, 2.0, -v70
	;; [unrolled: 1-line block ×3, first 2 shown]
	v_sub_f16_e32 v42, v41, v42
	v_sub_f16_e32 v75, v29, v69
	v_fma_f16 v41, v41, 2.0, -v42
	v_fma_f16 v29, v29, 2.0, -v75
	v_pack_b32_f16 v29, v41, v29
	v_sub_f16_e32 v41, v28, v72
	v_add_f16_e32 v70, v25, v70
	v_fma_f16 v28, v28, 2.0, -v41
	v_fma_f16 v25, v25, 2.0, -v70
	v_pack_b32_f16 v25, v28, v25
	v_lshlrev_b32_e32 v69, 2, v30
	ds_write2_b32 v69, v29, v25 offset1:144
	v_pack_b32_f16 v25, v42, v75
	v_pack_b32_f16 v28, v41, v70
	v_add_u32_e32 v70, 0x400, v69
	ds_write2_b32 v70, v25, v28 offset0:32 offset1:176
	v_lshrrev_b32_e32 v25, 16, v71
	v_mad_legacy_u16 v26, v74, s12, v26
	s_mul_i32 s12, s5, 0xc00
	s_waitcnt vmcnt(0)
	v_mul_f16_sdwa v29, v71, v36 dst_sel:DWORD dst_unused:UNUSED_PAD src0_sel:DWORD src1_sel:WORD_1
	v_mul_f16_sdwa v28, v25, v36 dst_sel:DWORD dst_unused:UNUSED_PAD src0_sel:DWORD src1_sel:WORD_1
	v_fma_f16 v25, v25, v36, v29
	v_lshrrev_b32_e32 v29, 16, v40
	v_mul_f16_sdwa v30, v29, v37 dst_sel:DWORD dst_unused:UNUSED_PAD src0_sel:DWORD src1_sel:WORD_1
	v_fma_f16 v30, v40, v37, -v30
	v_mul_f16_sdwa v40, v40, v37 dst_sel:DWORD dst_unused:UNUSED_PAD src0_sel:DWORD src1_sel:WORD_1
	v_fma_f16 v29, v29, v37, v40
	v_lshrrev_b32_e32 v40, 16, v73
	v_mul_f16_sdwa v41, v40, v38 dst_sel:DWORD dst_unused:UNUSED_PAD src0_sel:DWORD src1_sel:WORD_1
	v_mul_f16_sdwa v42, v73, v38 dst_sel:DWORD dst_unused:UNUSED_PAD src0_sel:DWORD src1_sel:WORD_1
	v_fma_f16 v28, v71, v36, -v28
	v_fma_f16 v41, v73, v38, -v41
	v_fma_f16 v40, v40, v38, v42
	v_lshrrev_b32_e32 v42, 16, v24
	v_sub_f16_e32 v30, v24, v30
	v_sub_f16_e32 v29, v42, v29
	;; [unrolled: 1-line block ×4, first 2 shown]
	v_fma_f16 v24, v24, 2.0, -v30
	v_fma_f16 v42, v42, 2.0, -v29
	;; [unrolled: 1-line block ×4, first 2 shown]
	v_sub_f16_e32 v28, v24, v28
	v_sub_f16_e32 v25, v42, v25
	;; [unrolled: 1-line block ×3, first 2 shown]
	v_add_f16_e32 v41, v29, v41
	v_fma_f16 v24, v24, 2.0, -v28
	v_fma_f16 v42, v42, 2.0, -v25
	;; [unrolled: 1-line block ×4, first 2 shown]
	v_pack_b32_f16 v24, v24, v42
	v_pack_b32_f16 v29, v30, v29
	v_lshlrev_b32_e32 v71, 2, v26
	ds_write2_b32 v71, v24, v29 offset1:144
	v_pack_b32_f16 v24, v28, v25
	v_pack_b32_f16 v25, v40, v41
	v_add_u32_e32 v72, 0x400, v71
	ds_write2_b32 v72, v24, v25 offset0:32 offset1:176
	v_mad_u64_u32 v[24:25], s[10:11], v46, 12, s[10:11]
	s_waitcnt lgkmcnt(0)
	s_barrier
	global_load_dwordx3 v[28:30], v[24:25], off offset:2280
	v_add_co_u32_e32 v40, vcc, s14, v24
	ds_read2st64_b32 v[74:75], v44 offset0:18 offset1:21
	s_nop 0
	v_addc_co_u32_e32 v41, vcc, 0, v25, vcc
	global_load_dwordx3 v[24:26], v[40:41], off offset:488
	ds_read2st64_b32 v[76:77], v44 offset1:3
	s_waitcnt lgkmcnt(1)
	v_lshrrev_b32_e32 v42, 16, v74
	s_mov_b32 s10, 0x8000
	s_mul_i32 s11, s5, 0x600
	s_waitcnt lgkmcnt(0)
	v_lshrrev_b32_e32 v84, 16, v77
	s_waitcnt vmcnt(1)
	v_mul_f16_sdwa v73, v74, v29 dst_sel:DWORD dst_unused:UNUSED_PAD src0_sel:DWORD src1_sel:WORD_1
	v_fma_f16 v73, v42, v29, v73
	v_mul_f16_sdwa v42, v42, v29 dst_sel:DWORD dst_unused:UNUSED_PAD src0_sel:DWORD src1_sel:WORD_1
	v_fma_f16 v42, v74, v29, -v42
	v_lshrrev_b32_e32 v74, 16, v75
	v_sub_f16_e32 v42, v76, v42
	s_waitcnt vmcnt(0)
	v_mul_f16_sdwa v78, v74, v25 dst_sel:DWORD dst_unused:UNUSED_PAD src0_sel:DWORD src1_sel:WORD_1
	v_fma_f16 v78, v75, v25, -v78
	v_mul_f16_sdwa v75, v75, v25 dst_sel:DWORD dst_unused:UNUSED_PAD src0_sel:DWORD src1_sel:WORD_1
	v_fma_f16 v82, v74, v25, v75
	ds_read2st64_b32 v[74:75], v44 offset0:6 offset1:9
	v_sub_f16_e32 v83, v77, v78
	v_lshrrev_b32_e32 v78, 16, v76
	v_fma_f16 v79, v76, 2.0, -v42
	v_fma_f16 v85, v77, 2.0, -v83
	ds_read2st64_b32 v[76:77], v44 offset0:24 offset1:27
	s_waitcnt lgkmcnt(1)
	v_lshrrev_b32_e32 v80, 16, v75
	v_mul_f16_sdwa v81, v75, v28 dst_sel:DWORD dst_unused:UNUSED_PAD src0_sel:DWORD src1_sel:WORD_1
	v_fma_f16 v81, v80, v28, v81
	v_mul_f16_sdwa v80, v80, v28 dst_sel:DWORD dst_unused:UNUSED_PAD src0_sel:DWORD src1_sel:WORD_1
	v_fma_f16 v75, v75, v28, -v80
	s_waitcnt lgkmcnt(0)
	v_lshrrev_b32_e32 v80, 16, v77
	v_mul_f16_sdwa v86, v77, v30 dst_sel:DWORD dst_unused:UNUSED_PAD src0_sel:DWORD src1_sel:WORD_1
	v_fma_f16 v86, v80, v30, v86
	v_mul_f16_sdwa v80, v80, v30 dst_sel:DWORD dst_unused:UNUSED_PAD src0_sel:DWORD src1_sel:WORD_1
	v_fma_f16 v77, v77, v30, -v80
	v_sub_f16_e32 v73, v78, v73
	v_sub_f16_e32 v77, v75, v77
	;; [unrolled: 1-line block ×3, first 2 shown]
	v_fma_f16 v78, v78, 2.0, -v73
	v_fma_f16 v75, v75, 2.0, -v77
	;; [unrolled: 1-line block ×3, first 2 shown]
	v_sub_f16_e32 v75, v79, v75
	v_sub_f16_e32 v86, v78, v81
	v_fma_f16 v79, v79, 2.0, -v75
	v_fma_f16 v78, v78, 2.0, -v86
	v_pack_b32_f16 v87, v79, v78
	v_sub_f16_e32 v88, v42, v80
	v_add_f16_e32 v77, v73, v77
	ds_read2st64_b32 v[78:79], v44 offset0:12 offset1:15
	ds_read2st64_b32 v[80:81], v44 offset0:30 offset1:33
	v_fma_f16 v42, v42, 2.0, -v88
	v_fma_f16 v73, v73, 2.0, -v77
	v_pack_b32_f16 v42, v42, v73
	ds_write_b32 v44, v42 offset:2304
	v_pack_b32_f16 v42, v75, v86
	ds_write_b32 v44, v42 offset:4608
	;; [unrolled: 2-line block ×3, first 2 shown]
	s_waitcnt lgkmcnt(4)
	v_lshrrev_b32_e32 v42, 16, v78
	v_mul_f16_sdwa v73, v78, v24 dst_sel:DWORD dst_unused:UNUSED_PAD src0_sel:DWORD src1_sel:WORD_1
	s_waitcnt lgkmcnt(3)
	v_lshrrev_b32_e32 v75, 16, v80
	v_mul_f16_sdwa v77, v80, v26 dst_sel:DWORD dst_unused:UNUSED_PAD src0_sel:DWORD src1_sel:WORD_1
	v_fma_f16 v73, v42, v24, v73
	v_mul_f16_sdwa v42, v42, v24 dst_sel:DWORD dst_unused:UNUSED_PAD src0_sel:DWORD src1_sel:WORD_1
	v_fma_f16 v77, v75, v26, v77
	v_mul_f16_sdwa v75, v75, v26 dst_sel:DWORD dst_unused:UNUSED_PAD src0_sel:DWORD src1_sel:WORD_1
	v_fma_f16 v42, v78, v24, -v42
	v_fma_f16 v75, v80, v26, -v75
	v_sub_f16_e32 v78, v84, v82
	v_sub_f16_e32 v75, v42, v75
	;; [unrolled: 1-line block ×3, first 2 shown]
	v_fma_f16 v80, v84, 2.0, -v78
	v_fma_f16 v42, v42, 2.0, -v75
	;; [unrolled: 1-line block ×3, first 2 shown]
	v_sub_f16_e32 v82, v85, v42
	v_sub_f16_e32 v73, v80, v73
	v_fma_f16 v42, v85, 2.0, -v82
	v_fma_f16 v80, v80, 2.0, -v73
	v_pack_b32_f16 v80, v42, v80
	global_load_dwordx3 v[40:42], v[40:41], off offset:2792
	ds_write2st64_b32 v44, v87, v80 offset1:3
	v_lshrrev_b32_e32 v80, 16, v79
	v_sub_f16_e32 v77, v83, v77
	v_add_f16_e32 v75, v78, v75
	v_fma_f16 v78, v78, 2.0, -v75
	v_pack_b32_f16 v75, v77, v75
	v_fma_f16 v83, v83, 2.0, -v77
	ds_write_b32 v44, v75 offset:7680
	v_pack_b32_f16 v78, v83, v78
	v_pack_b32_f16 v73, v82, v73
	s_waitcnt vmcnt(0)
	v_mul_f16_sdwa v84, v80, v40 dst_sel:DWORD dst_unused:UNUSED_PAD src0_sel:DWORD src1_sel:WORD_1
	v_fma_f16 v84, v79, v40, -v84
	v_mul_f16_sdwa v79, v79, v40 dst_sel:DWORD dst_unused:UNUSED_PAD src0_sel:DWORD src1_sel:WORD_1
	v_fma_f16 v79, v80, v40, v79
	v_lshrrev_b32_e32 v80, 16, v76
	v_mul_f16_sdwa v85, v80, v41 dst_sel:DWORD dst_unused:UNUSED_PAD src0_sel:DWORD src1_sel:WORD_1
	v_fma_f16 v85, v76, v41, -v85
	v_mul_f16_sdwa v76, v76, v41 dst_sel:DWORD dst_unused:UNUSED_PAD src0_sel:DWORD src1_sel:WORD_1
	v_fma_f16 v76, v80, v41, v76
	v_lshrrev_b32_e32 v80, 16, v81
	v_mul_f16_sdwa v86, v80, v42 dst_sel:DWORD dst_unused:UNUSED_PAD src0_sel:DWORD src1_sel:WORD_1
	v_fma_f16 v86, v81, v42, -v86
	v_mul_f16_sdwa v81, v81, v42 dst_sel:DWORD dst_unused:UNUSED_PAD src0_sel:DWORD src1_sel:WORD_1
	v_fma_f16 v80, v80, v42, v81
	v_sub_f16_e32 v81, v74, v85
	v_lshrrev_b32_e32 v85, 16, v74
	v_sub_f16_e32 v75, v85, v76
	v_sub_f16_e32 v76, v84, v86
	;; [unrolled: 1-line block ×4, first 2 shown]
	v_add_f16_e32 v83, v75, v76
	v_fma_f16 v74, v74, 2.0, -v81
	v_fma_f16 v81, v81, 2.0, -v80
	;; [unrolled: 1-line block ×6, first 2 shown]
	v_pack_b32_f16 v81, v81, v86
	v_sub_f16_e32 v76, v74, v76
	v_sub_f16_e32 v77, v75, v77
	ds_write2st64_b32 v44, v78, v81 offset0:12 offset1:15
	v_pack_b32_f16 v78, v76, v77
	ds_write2st64_b32 v44, v73, v78 offset0:21 offset1:24
	v_fma_f16 v73, v74, 2.0, -v76
	v_fma_f16 v74, v75, 2.0, -v77
	v_pack_b32_f16 v73, v73, v74
	ds_write_b32 v44, v73 offset:1536
	v_pack_b32_f16 v73, v80, v83
	ds_write_b32 v44, v73 offset:8448
	s_waitcnt lgkmcnt(0)
	s_barrier
	global_load_dword v73, v44, s[2:3]
	global_load_dword v78, v44, s[2:3] offset:768
	global_load_dword v79, v44, s[2:3] offset:1536
	;; [unrolled: 1-line block ×5, first 2 shown]
	v_lshl_add_u64 v[74:75], s[2:3], 0, v[44:45]
	v_add_co_u32_e32 v76, vcc, s14, v74
	s_nop 1
	v_addc_co_u32_e32 v77, vcc, 0, v75, vcc
	global_load_dword v45, v[76:77], off offset:2816
	global_load_dword v83, v[76:77], off offset:3584
	;; [unrolled: 1-line block ×4, first 2 shown]
	global_load_dword v86, v63, s[2:3]
	v_add_co_u32_e32 v74, vcc, s9, v74
	ds_read2st64_b32 v[76:77], v44 offset1:3
	s_nop 0
	v_addc_co_u32_e32 v75, vcc, 0, v75, vcc
	global_load_dword v63, v[74:75], off offset:256
	s_mov_b32 s2, 0xb8003800
	s_waitcnt lgkmcnt(0)
	v_lshrrev_b32_e32 v74, 16, v76
	s_movk_i32 s9, 0x40f
	s_waitcnt vmcnt(11)
	v_mul_f16_sdwa v75, v76, v73 dst_sel:DWORD dst_unused:UNUSED_PAD src0_sel:DWORD src1_sel:WORD_1
	v_fma_f16 v75, v74, v73, v75
	v_mul_f16_sdwa v74, v74, v73 dst_sel:DWORD dst_unused:UNUSED_PAD src0_sel:DWORD src1_sel:WORD_1
	v_fma_f16 v73, v76, v73, -v74
	v_pack_b32_f16 v73, v73, v75
	ds_write_b32 v44, v73
	ds_read2st64_b32 v[74:75], v44 offset0:6 offset1:9
	v_lshrrev_b32_e32 v76, 16, v77
	s_waitcnt vmcnt(10)
	v_mul_f16_sdwa v73, v76, v78 dst_sel:DWORD dst_unused:UNUSED_PAD src0_sel:DWORD src1_sel:WORD_1
	v_fma_f16 v73, v77, v78, -v73
	v_mul_f16_sdwa v77, v77, v78 dst_sel:DWORD dst_unused:UNUSED_PAD src0_sel:DWORD src1_sel:WORD_1
	v_fma_f16 v76, v76, v78, v77
	s_waitcnt lgkmcnt(0)
	v_lshrrev_b32_e32 v77, 16, v74
	s_waitcnt vmcnt(9)
	v_mul_f16_sdwa v78, v74, v79 dst_sel:DWORD dst_unused:UNUSED_PAD src0_sel:DWORD src1_sel:WORD_1
	v_fma_f16 v78, v77, v79, v78
	v_mul_f16_sdwa v77, v77, v79 dst_sel:DWORD dst_unused:UNUSED_PAD src0_sel:DWORD src1_sel:WORD_1
	v_fma_f16 v74, v74, v79, -v77
	v_pack_b32_f16 v73, v73, v76
	ds_read2st64_b32 v[76:77], v44 offset0:12 offset1:15
	v_pack_b32_f16 v74, v74, v78
	ds_write2st64_b32 v44, v73, v74 offset0:3 offset1:6
	v_lshrrev_b32_e32 v73, 16, v75
	s_waitcnt vmcnt(8)
	v_mul_f16_sdwa v74, v73, v80 dst_sel:DWORD dst_unused:UNUSED_PAD src0_sel:DWORD src1_sel:WORD_1
	v_fma_f16 v74, v75, v80, -v74
	v_mul_f16_sdwa v75, v75, v80 dst_sel:DWORD dst_unused:UNUSED_PAD src0_sel:DWORD src1_sel:WORD_1
	v_fma_f16 v73, v73, v80, v75
	s_waitcnt lgkmcnt(1)
	v_lshrrev_b32_e32 v75, 16, v76
	s_waitcnt vmcnt(7)
	v_mul_f16_sdwa v78, v76, v81 dst_sel:DWORD dst_unused:UNUSED_PAD src0_sel:DWORD src1_sel:WORD_1
	v_fma_f16 v78, v75, v81, v78
	v_mul_f16_sdwa v75, v75, v81 dst_sel:DWORD dst_unused:UNUSED_PAD src0_sel:DWORD src1_sel:WORD_1
	v_fma_f16 v75, v76, v81, -v75
	v_pack_b32_f16 v75, v75, v78
	v_pack_b32_f16 v73, v74, v73
	ds_write2st64_b32 v44, v73, v75 offset0:9 offset1:12
	ds_read2st64_b32 v[74:75], v44 offset0:18 offset1:21
	v_lshrrev_b32_e32 v73, 16, v77
	s_waitcnt vmcnt(6)
	v_mul_f16_sdwa v76, v73, v82 dst_sel:DWORD dst_unused:UNUSED_PAD src0_sel:DWORD src1_sel:WORD_1
	v_fma_f16 v76, v77, v82, -v76
	v_mul_f16_sdwa v77, v77, v82 dst_sel:DWORD dst_unused:UNUSED_PAD src0_sel:DWORD src1_sel:WORD_1
	v_fma_f16 v73, v73, v82, v77
	s_waitcnt lgkmcnt(0)
	v_lshrrev_b32_e32 v77, 16, v74
	s_waitcnt vmcnt(3)
	v_mul_f16_sdwa v78, v74, v84 dst_sel:DWORD dst_unused:UNUSED_PAD src0_sel:DWORD src1_sel:WORD_1
	v_fma_f16 v78, v77, v84, v78
	v_mul_f16_sdwa v77, v77, v84 dst_sel:DWORD dst_unused:UNUSED_PAD src0_sel:DWORD src1_sel:WORD_1
	v_fma_f16 v74, v74, v84, -v77
	v_pack_b32_f16 v73, v76, v73
	ds_read2st64_b32 v[76:77], v44 offset0:24 offset1:27
	v_pack_b32_f16 v74, v74, v78
	ds_write2st64_b32 v44, v73, v74 offset0:15 offset1:18
	v_lshrrev_b32_e32 v73, 16, v75
	s_waitcnt vmcnt(2)
	v_mul_f16_sdwa v74, v73, v85 dst_sel:DWORD dst_unused:UNUSED_PAD src0_sel:DWORD src1_sel:WORD_1
	v_fma_f16 v74, v75, v85, -v74
	v_mul_f16_sdwa v75, v75, v85 dst_sel:DWORD dst_unused:UNUSED_PAD src0_sel:DWORD src1_sel:WORD_1
	v_fma_f16 v73, v73, v85, v75
	s_waitcnt lgkmcnt(1)
	v_lshrrev_b32_e32 v75, 16, v76
	s_waitcnt vmcnt(1)
	v_mul_f16_sdwa v78, v76, v86 dst_sel:DWORD dst_unused:UNUSED_PAD src0_sel:DWORD src1_sel:WORD_1
	v_fma_f16 v78, v75, v86, v78
	v_mul_f16_sdwa v75, v75, v86 dst_sel:DWORD dst_unused:UNUSED_PAD src0_sel:DWORD src1_sel:WORD_1
	v_fma_f16 v75, v76, v86, -v75
	v_pack_b32_f16 v75, v75, v78
	v_pack_b32_f16 v73, v74, v73
	ds_write2st64_b32 v44, v73, v75 offset0:21 offset1:24
	ds_read2st64_b32 v[74:75], v44 offset0:30 offset1:33
	v_lshrrev_b32_e32 v73, 16, v77
	v_mul_f16_sdwa v76, v73, v45 dst_sel:DWORD dst_unused:UNUSED_PAD src0_sel:DWORD src1_sel:WORD_1
	v_fma_f16 v76, v77, v45, -v76
	v_mul_f16_sdwa v77, v77, v45 dst_sel:DWORD dst_unused:UNUSED_PAD src0_sel:DWORD src1_sel:WORD_1
	v_fma_f16 v45, v73, v45, v77
	s_waitcnt lgkmcnt(0)
	v_lshrrev_b32_e32 v73, 16, v74
	v_mul_f16_sdwa v77, v74, v83 dst_sel:DWORD dst_unused:UNUSED_PAD src0_sel:DWORD src1_sel:WORD_1
	v_fma_f16 v77, v73, v83, v77
	v_mul_f16_sdwa v73, v73, v83 dst_sel:DWORD dst_unused:UNUSED_PAD src0_sel:DWORD src1_sel:WORD_1
	v_fma_f16 v73, v74, v83, -v73
	v_pack_b32_f16 v73, v73, v77
	v_pack_b32_f16 v45, v76, v45
	ds_write2st64_b32 v44, v45, v73 offset0:27 offset1:30
	v_lshrrev_b32_e32 v45, 16, v75
	s_waitcnt vmcnt(0)
	v_mul_f16_sdwa v73, v45, v63 dst_sel:DWORD dst_unused:UNUSED_PAD src0_sel:DWORD src1_sel:WORD_1
	v_mul_f16_sdwa v74, v75, v63 dst_sel:DWORD dst_unused:UNUSED_PAD src0_sel:DWORD src1_sel:WORD_1
	v_fma_f16 v73, v75, v63, -v73
	v_fma_f16 v45, v45, v63, v74
	v_pack_b32_f16 v45, v73, v45
	ds_write_b32 v44, v45 offset:8448
	s_waitcnt lgkmcnt(0)
	s_barrier
	ds_read2st64_b32 v[74:75], v44 offset0:12 offset1:15
	ds_read2st64_b32 v[76:77], v44 offset0:24 offset1:27
	ds_read2st64_b32 v[78:79], v44 offset1:3
	ds_read2st64_b32 v[80:81], v44 offset0:18 offset1:21
	ds_read2st64_b32 v[82:83], v44 offset0:30 offset1:33
	;; [unrolled: 1-line block ×3, first 2 shown]
	s_waitcnt lgkmcnt(0)
	s_barrier
	v_pk_add_f16 v45, v74, v76
	v_pk_add_f16 v63, v74, v76 neg_lo:[0,1] neg_hi:[0,1]
	v_pk_fma_f16 v45, v45, 0.5, v78 op_sel_hi:[1,0,1] neg_lo:[1,0,0] neg_hi:[1,0,0]
	v_pk_add_f16 v86, v80, v82 neg_lo:[0,1] neg_hi:[0,1]
	v_pk_fma_f16 v73, v63, s7, v45 op_sel:[0,0,1] op_sel_hi:[1,0,0] neg_lo:[1,0,0] neg_hi:[1,0,0]
	v_pk_fma_f16 v45, v63, s7, v45 op_sel:[0,0,1] op_sel_hi:[1,0,0]
	v_pk_add_f16 v63, v80, v82
	v_pk_add_f16 v74, v78, v74
	v_pk_fma_f16 v63, v63, 0.5, v84 op_sel_hi:[1,0,1] neg_lo:[1,0,0] neg_hi:[1,0,0]
	v_pk_add_f16 v74, v74, v76
	v_pk_fma_f16 v87, v86, s7, v63 op_sel:[0,0,1] op_sel_hi:[1,0,0]
	v_pk_fma_f16 v63, v86, s7, v63 op_sel:[0,0,1] op_sel_hi:[1,0,0] neg_lo:[1,0,0] neg_hi:[1,0,0]
	v_mul_f16_e32 v88, 0xbaee, v87
	v_lshrrev_b32_e32 v86, 16, v63
	v_fma_f16 v90, v86, 0.5, v88
	v_pk_mul_f16 v86, v63, s7 op_sel_hi:[1,0]
	v_mul_f16_e32 v63, -0.5, v63
	v_pk_fma_f16 v91, v87, s2, v86 op_sel:[0,0,1] op_sel_hi:[1,1,0]
	v_pk_fma_f16 v92, v87, s2, v86 op_sel:[0,0,1] op_sel_hi:[1,1,0] neg_lo:[0,0,1] neg_hi:[0,0,1]
	v_lshrrev_b32_e32 v86, 16, v87
	v_pk_add_f16 v76, v84, v80
	v_fma_f16 v63, v86, s7, v63
	v_pk_add_f16 v76, v76, v82
	v_bfi_b32 v78, s6, v91, v92
	v_pk_add_f16 v78, v45, v78
	v_add_f16_e32 v80, v73, v63
	v_pk_add_f16 v87, v74, v76 neg_lo:[0,1] neg_hi:[0,1]
	v_pk_add_f16 v88, v74, v76
	v_add_f16_sdwa v74, v73, v90 dst_sel:DWORD dst_unused:UNUSED_PAD src0_sel:WORD_1 src1_sel:DWORD
	v_alignbit_b32 v86, v80, v78, 16
	v_pack_b32_f16 v89, v74, v78
	v_pack_b32_f16 v74, v90, v91
	v_alignbit_b32 v76, v45, v73, 16
	v_alignbit_b32 v45, v73, v45, 16
	;; [unrolled: 1-line block ×3, first 2 shown]
	ds_write2_b64 v65, v[88:89], v[86:87] offset1:1
	v_pk_add_f16 v86, v76, v74 neg_lo:[0,1] neg_hi:[0,1]
	v_pk_add_f16 v87, v45, v63 neg_lo:[0,1] neg_hi:[0,1]
	v_pk_add_f16 v63, v75, v77
	v_pk_add_f16 v74, v81, v83
	ds_write_b64 v65, v[86:87] offset:16
	v_pk_add_f16 v45, v79, v75
	v_pk_add_f16 v65, v75, v77 neg_lo:[0,1] neg_hi:[0,1]
	v_pk_add_f16 v75, v81, v83 neg_lo:[0,1] neg_hi:[0,1]
	v_pk_fma_f16 v63, v63, 0.5, v79 op_sel_hi:[1,0,1] neg_lo:[1,0,0] neg_hi:[1,0,0]
	v_pk_fma_f16 v74, v74, 0.5, v85 op_sel_hi:[1,0,1] neg_lo:[1,0,0] neg_hi:[1,0,0]
	v_pk_fma_f16 v78, v65, s7, v63 op_sel:[0,0,1] op_sel_hi:[1,0,0] neg_lo:[1,0,0] neg_hi:[1,0,0]
	v_pk_fma_f16 v63, v65, s7, v63 op_sel:[0,0,1] op_sel_hi:[1,0,0]
	v_pk_fma_f16 v65, v75, s7, v74 op_sel:[0,0,1] op_sel_hi:[1,0,0]
	v_pk_fma_f16 v74, v75, s7, v74 op_sel:[0,0,1] op_sel_hi:[1,0,0] neg_lo:[1,0,0] neg_hi:[1,0,0]
	v_mul_f16_e32 v76, 0xbaee, v65
	v_lshrrev_b32_e32 v75, 16, v74
	v_fma_f16 v79, v75, 0.5, v76
	v_pk_mul_f16 v75, v74, s7 op_sel_hi:[1,0]
	v_pk_add_f16 v73, v85, v81
	v_pk_fma_f16 v80, v65, s2, v75 op_sel:[0,0,1] op_sel_hi:[1,1,0]
	v_pk_fma_f16 v81, v65, s2, v75 op_sel:[0,0,1] op_sel_hi:[1,1,0] neg_lo:[0,0,1] neg_hi:[0,0,1]
	v_lshrrev_b32_e32 v65, 16, v65
	v_mul_f16_e32 v74, -0.5, v74
	v_pk_add_f16 v45, v45, v77
	v_pk_add_f16 v73, v73, v83
	v_fma_f16 v65, v65, s7, v74
	v_bfi_b32 v74, s6, v80, v81
	v_pk_add_f16 v77, v63, v74
	v_add_f16_e32 v74, v78, v65
	v_pk_add_f16 v75, v45, v73 neg_lo:[0,1] neg_hi:[0,1]
	v_pk_add_f16 v76, v45, v73
	v_add_f16_sdwa v45, v78, v79 dst_sel:DWORD dst_unused:UNUSED_PAD src0_sel:WORD_1 src1_sel:DWORD
	v_alignbit_b32 v74, v74, v77, 16
	v_pack_b32_f16 v77, v45, v77
	v_pack_b32_f16 v45, v79, v80
	v_alignbit_b32 v73, v63, v78, 16
	v_alignbit_b32 v63, v78, v63, 16
	;; [unrolled: 1-line block ×3, first 2 shown]
	ds_write2_b64 v49, v[76:77], v[74:75] offset1:1
	v_pk_add_f16 v74, v73, v45 neg_lo:[0,1] neg_hi:[0,1]
	v_pk_add_f16 v75, v63, v65 neg_lo:[0,1] neg_hi:[0,1]
	ds_write_b64 v49, v[74:75] offset:16
	s_waitcnt lgkmcnt(0)
	s_barrier
	ds_read2st64_b32 v[74:75], v44 offset0:6 offset1:9
	ds_read2st64_b32 v[76:77], v44 offset0:12 offset1:15
	;; [unrolled: 1-line block ×3, first 2 shown]
	s_mov_b32 s2, 0x1c71c71c
	s_mov_b32 s3, 0x3f3c71c7
	s_waitcnt lgkmcnt(2)
	v_lshrrev_b32_e32 v45, 16, v74
	v_mul_f16_sdwa v49, v0, v74 dst_sel:DWORD dst_unused:UNUSED_PAD src0_sel:WORD_1 src1_sel:DWORD
	v_fma_f16 v49, v0, v45, -v49
	v_mul_f16_sdwa v45, v0, v45 dst_sel:DWORD dst_unused:UNUSED_PAD src0_sel:WORD_1 src1_sel:DWORD
	v_fma_f16 v45, v0, v74, v45
	s_waitcnt lgkmcnt(1)
	v_lshrrev_b32_e32 v0, 16, v76
	v_mul_f16_sdwa v63, v1, v76 dst_sel:DWORD dst_unused:UNUSED_PAD src0_sel:WORD_1 src1_sel:DWORD
	v_fma_f16 v63, v1, v0, -v63
	v_mul_f16_sdwa v0, v1, v0 dst_sel:DWORD dst_unused:UNUSED_PAD src0_sel:WORD_1 src1_sel:DWORD
	v_fma_f16 v65, v1, v76, v0
	ds_read2st64_b32 v[0:1], v44 offset0:24 offset1:27
	s_waitcnt lgkmcnt(1)
	v_lshrrev_b32_e32 v73, 16, v78
	v_mul_f16_sdwa v74, v2, v78 dst_sel:DWORD dst_unused:UNUSED_PAD src0_sel:WORD_1 src1_sel:DWORD
	v_fma_f16 v74, v2, v73, -v74
	v_mul_f16_sdwa v73, v2, v73 dst_sel:DWORD dst_unused:UNUSED_PAD src0_sel:WORD_1 src1_sel:DWORD
	v_fma_f16 v73, v2, v78, v73
	s_waitcnt lgkmcnt(0)
	v_lshrrev_b32_e32 v2, 16, v0
	v_mul_f16_sdwa v76, v3, v0 dst_sel:DWORD dst_unused:UNUSED_PAD src0_sel:WORD_1 src1_sel:DWORD
	v_fma_f16 v76, v3, v2, -v76
	v_mul_f16_sdwa v2, v3, v2 dst_sel:DWORD dst_unused:UNUSED_PAD src0_sel:WORD_1 src1_sel:DWORD
	v_fma_f16 v78, v3, v0, v2
	v_lshrrev_b32_e32 v0, 16, v75
	v_mul_f16_sdwa v2, v4, v0 dst_sel:DWORD dst_unused:UNUSED_PAD src0_sel:WORD_1 src1_sel:DWORD
	v_fma_f16 v80, v4, v75, v2
	v_mul_f16_sdwa v2, v4, v75 dst_sel:DWORD dst_unused:UNUSED_PAD src0_sel:WORD_1 src1_sel:DWORD
	v_fma_f16 v4, v4, v0, -v2
	v_lshrrev_b32_e32 v0, 16, v77
	v_mul_f16_sdwa v2, v5, v0 dst_sel:DWORD dst_unused:UNUSED_PAD src0_sel:WORD_1 src1_sel:DWORD
	v_fma_f16 v75, v5, v77, v2
	v_mul_f16_sdwa v2, v5, v77 dst_sel:DWORD dst_unused:UNUSED_PAD src0_sel:WORD_1 src1_sel:DWORD
	v_fma_f16 v5, v5, v0, -v2
	;; [unrolled: 5-line block ×3, first 2 shown]
	v_lshrrev_b32_e32 v0, 16, v1
	ds_read2st64_b32 v[2:3], v44 offset0:30 offset1:33
	v_mul_f16_sdwa v79, v7, v0 dst_sel:DWORD dst_unused:UNUSED_PAD src0_sel:WORD_1 src1_sel:DWORD
	v_fma_f16 v79, v7, v1, v79
	v_mul_f16_sdwa v1, v7, v1 dst_sel:DWORD dst_unused:UNUSED_PAD src0_sel:WORD_1 src1_sel:DWORD
	v_fma_f16 v7, v7, v0, -v1
	ds_read2st64_b32 v[0:1], v44 offset1:3
	s_waitcnt lgkmcnt(1)
	v_lshrrev_b32_e32 v81, 16, v2
	v_mul_f16_sdwa v82, v64, v2 dst_sel:DWORD dst_unused:UNUSED_PAD src0_sel:WORD_1 src1_sel:DWORD
	v_fma_f16 v82, v64, v81, -v82
	v_mul_f16_sdwa v81, v64, v81 dst_sel:DWORD dst_unused:UNUSED_PAD src0_sel:WORD_1 src1_sel:DWORD
	v_fma_f16 v2, v64, v2, v81
	s_waitcnt lgkmcnt(0)
	v_lshrrev_b32_e32 v64, 16, v0
	v_add_f16_e32 v81, v64, v63
	v_sub_f16_e32 v83, v63, v76
	v_add_f16_e32 v63, v63, v76
	v_fma_f16 v63, v63, -0.5, v64
	v_add_f16_e32 v64, v0, v65
	v_add_f16_e32 v81, v81, v76
	v_add_f16_e32 v64, v64, v78
	v_add_f16_e32 v76, v65, v78
	v_sub_f16_e32 v65, v65, v78
	v_add_f16_e32 v78, v49, v74
	v_sub_f16_e32 v84, v74, v82
	v_add_f16_e32 v74, v74, v82
	v_fma_f16 v49, v74, -0.5, v49
	v_add_f16_e32 v74, v73, v2
	v_fma_f16 v74, v74, -0.5, v45
	v_add_f16_e32 v45, v45, v73
	v_add_f16_e32 v45, v45, v2
	v_sub_f16_e32 v2, v73, v2
	v_add_f16_e32 v78, v78, v82
	v_fma_f16 v82, v2, s7, v49
	v_fma_f16 v73, v84, s8, v74
	v_mul_f16_e32 v85, 0xbaee, v82
	v_mul_f16_e32 v82, 0.5, v82
	v_fma_f16 v85, v73, 0.5, v85
	v_fma_f16 v73, v73, s7, v82
	v_add_f16_e32 v82, v64, v45
	v_add_f16_e32 v86, v81, v78
	v_fma_f16 v2, v2, s8, v49
	v_pack_b32_f16 v82, v82, v86
	v_fma_f16 v0, v76, -0.5, v0
	v_fma_f16 v86, v65, s7, v63
	v_fma_f16 v63, v65, s8, v63
	;; [unrolled: 1-line block ×3, first 2 shown]
	v_mul_f16_e32 v49, 0xbaee, v2
	v_mul_f16_e32 v2, -0.5, v2
	v_fma_f16 v76, v83, s8, v0
	v_fma_f16 v0, v83, s7, v0
	v_fma_f16 v49, v65, -0.5, v49
	v_fma_f16 v2, v65, s7, v2
	v_sub_f16_e32 v45, v64, v45
	v_sub_f16_e32 v64, v81, v78
	v_add_f16_e32 v65, v0, v49
	v_add_f16_e32 v74, v63, v2
	v_pack_b32_f16 v65, v65, v74
	v_pack_b32_f16 v45, v45, v64
	s_barrier
	ds_write2_b32 v67, v65, v45 offset0:12 offset1:18
	v_sub_f16_e32 v45, v76, v85
	v_sub_f16_e32 v0, v0, v49
	;; [unrolled: 1-line block ×4, first 2 shown]
	v_pack_b32_f16 v45, v45, v49
	v_pack_b32_f16 v0, v0, v2
	ds_write2_b32 v67, v45, v0 offset0:24 offset1:30
	v_lshrrev_b32_e32 v0, 16, v3
	v_mul_f16_sdwa v2, v66, v0 dst_sel:DWORD dst_unused:UNUSED_PAD src0_sel:WORD_1 src1_sel:DWORD
	v_lshrrev_b32_e32 v45, 16, v1
	v_fma_f16 v2, v66, v3, v2
	v_mul_f16_sdwa v3, v66, v3 dst_sel:DWORD dst_unused:UNUSED_PAD src0_sel:WORD_1 src1_sel:DWORD
	v_add_f16_e32 v49, v45, v5
	v_sub_f16_e32 v63, v5, v7
	v_add_f16_e32 v5, v5, v7
	v_fma_f16 v0, v66, v0, -v3
	v_fma_f16 v5, v5, -0.5, v45
	v_add_f16_e32 v45, v4, v6
	v_add_f16_e32 v45, v45, v0
	v_sub_f16_e32 v64, v6, v0
	v_add_f16_e32 v0, v6, v0
	v_add_f16_e32 v6, v80, v77
	v_add_f16_e32 v87, v76, v85
	v_add_f16_e32 v88, v86, v73
	v_add_f16_e32 v3, v75, v79
	v_fma_f16 v0, v0, -0.5, v4
	v_add_f16_e32 v4, v77, v2
	v_add_f16_e32 v6, v6, v2
	v_sub_f16_e32 v2, v77, v2
	v_pack_b32_f16 v87, v87, v88
	v_fma_f16 v3, v3, -0.5, v1
	v_add_f16_e32 v1, v1, v75
	v_fma_f16 v4, v4, -0.5, v80
	v_fma_f16 v66, v2, s7, v0
	ds_write2_b32 v67, v82, v87 offset1:6
	v_add_f16_e32 v49, v49, v7
	v_add_f16_e32 v1, v1, v79
	v_fma_f16 v65, v64, s8, v4
	v_mul_f16_e32 v67, 0xbaee, v66
	v_mul_f16_e32 v66, 0.5, v66
	v_fma_f16 v0, v2, s8, v0
	v_sub_f16_e32 v7, v75, v79
	v_fma_f16 v67, v65, 0.5, v67
	v_fma_f16 v65, v65, s7, v66
	v_add_f16_e32 v66, v1, v6
	v_add_f16_e32 v73, v49, v45
	v_fma_f16 v4, v64, s7, v4
	v_mul_f16_e32 v2, 0xbaee, v0
	v_mul_f16_e32 v0, -0.5, v0
	v_pack_b32_f16 v66, v66, v73
	v_fma_f16 v73, v63, s8, v3
	v_fma_f16 v74, v7, s7, v5
	;; [unrolled: 1-line block ×4, first 2 shown]
	v_fma_f16 v2, v4, -0.5, v2
	v_fma_f16 v0, v4, s7, v0
	v_sub_f16_e32 v1, v1, v6
	v_sub_f16_e32 v4, v49, v45
	v_add_f16_e32 v6, v3, v2
	v_add_f16_e32 v7, v5, v0
	v_pack_b32_f16 v6, v6, v7
	v_pack_b32_f16 v1, v1, v4
	v_add_f16_e32 v75, v73, v67
	v_add_f16_e32 v76, v74, v65
	ds_write2_b32 v15, v6, v1 offset0:12 offset1:18
	v_sub_f16_e32 v1, v73, v67
	v_sub_f16_e32 v2, v3, v2
	;; [unrolled: 1-line block ×4, first 2 shown]
	v_pack_b32_f16 v75, v75, v76
	v_pack_b32_f16 v1, v1, v3
	;; [unrolled: 1-line block ×3, first 2 shown]
	ds_write2_b32 v15, v66, v75 offset1:6
	ds_write2_b32 v15, v1, v0 offset0:24 offset1:30
	s_waitcnt lgkmcnt(0)
	s_barrier
	ds_read2st64_b32 v[0:1], v44 offset0:12 offset1:15
	ds_read2st64_b32 v[2:3], v44 offset0:18 offset1:21
	s_movk_i32 s7, 0x1ff
	s_movk_i32 s8, 0xffe
	s_waitcnt lgkmcnt(1)
	v_lshrrev_b32_e32 v4, 16, v0
	v_mul_f16_sdwa v5, v12, v0 dst_sel:DWORD dst_unused:UNUSED_PAD src0_sel:WORD_1 src1_sel:DWORD
	v_fma_f16 v6, v12, v4, -v5
	v_mul_f16_sdwa v4, v12, v4 dst_sel:DWORD dst_unused:UNUSED_PAD src0_sel:WORD_1 src1_sel:DWORD
	v_fma_f16 v7, v12, v0, v4
	ds_read2st64_b32 v[4:5], v44 offset0:30 offset1:33
	s_waitcnt lgkmcnt(1)
	v_lshrrev_b32_e32 v0, 16, v3
	v_mul_f16_sdwa v12, v13, v3 dst_sel:DWORD dst_unused:UNUSED_PAD src0_sel:WORD_1 src1_sel:DWORD
	v_fma_f16 v12, v13, v0, -v12
	v_mul_f16_sdwa v0, v13, v0 dst_sel:DWORD dst_unused:UNUSED_PAD src0_sel:WORD_1 src1_sel:DWORD
	v_fma_f16 v13, v13, v3, v0
	s_waitcnt lgkmcnt(0)
	v_lshrrev_b32_e32 v0, 16, v4
	v_mul_f16_sdwa v3, v14, v4 dst_sel:DWORD dst_unused:UNUSED_PAD src0_sel:WORD_1 src1_sel:DWORD
	v_fma_f16 v15, v14, v0, -v3
	v_mul_f16_sdwa v0, v14, v0 dst_sel:DWORD dst_unused:UNUSED_PAD src0_sel:WORD_1 src1_sel:DWORD
	v_fma_f16 v4, v14, v4, v0
	v_lshrrev_b32_e32 v0, 16, v1
	v_mul_f16_sdwa v3, v16, v0 dst_sel:DWORD dst_unused:UNUSED_PAD src0_sel:WORD_1 src1_sel:DWORD
	v_fma_f16 v14, v16, v1, v3
	v_mul_f16_sdwa v1, v16, v1 dst_sel:DWORD dst_unused:UNUSED_PAD src0_sel:WORD_1 src1_sel:DWORD
	v_fma_f16 v16, v16, v0, -v1
	ds_read2st64_b32 v[0:1], v44 offset0:24 offset1:27
	v_lshrrev_b32_e32 v3, 16, v5
	v_mul_f16_sdwa v45, v18, v3 dst_sel:DWORD dst_unused:UNUSED_PAD src0_sel:WORD_1 src1_sel:DWORD
	v_fma_f16 v45, v18, v5, v45
	v_mul_f16_sdwa v5, v18, v5 dst_sel:DWORD dst_unused:UNUSED_PAD src0_sel:WORD_1 src1_sel:DWORD
	v_fma_f16 v5, v18, v3, -v5
	s_waitcnt lgkmcnt(0)
	v_lshrrev_b32_e32 v3, 16, v0
	v_mul_f16_sdwa v18, v17, v0 dst_sel:DWORD dst_unused:UNUSED_PAD src0_sel:WORD_1 src1_sel:DWORD
	v_fma_f16 v18, v17, v3, -v18
	v_mul_f16_sdwa v3, v17, v3 dst_sel:DWORD dst_unused:UNUSED_PAD src0_sel:WORD_1 src1_sel:DWORD
	v_fma_f16 v17, v17, v0, v3
	v_lshrrev_b32_e32 v0, 16, v2
	v_mul_f16_sdwa v3, v9, v0 dst_sel:DWORD dst_unused:UNUSED_PAD src0_sel:WORD_1 src1_sel:DWORD
	v_fma_f16 v49, v9, v2, v3
	v_mul_f16_sdwa v2, v9, v2 dst_sel:DWORD dst_unused:UNUSED_PAD src0_sel:WORD_1 src1_sel:DWORD
	v_fma_f16 v9, v9, v0, -v2
	v_lshrrev_b32_e32 v0, 16, v1
	ds_read2st64_b32 v[2:3], v44 offset0:6 offset1:9
	v_mul_f16_sdwa v63, v10, v0 dst_sel:DWORD dst_unused:UNUSED_PAD src0_sel:WORD_1 src1_sel:DWORD
	v_fma_f16 v63, v10, v1, v63
	v_mul_f16_sdwa v1, v10, v1 dst_sel:DWORD dst_unused:UNUSED_PAD src0_sel:WORD_1 src1_sel:DWORD
	v_fma_f16 v10, v10, v0, -v1
	ds_read2st64_b32 v[0:1], v44 offset1:3
	s_waitcnt lgkmcnt(1)
	v_lshrrev_b32_e32 v64, 16, v3
	v_mul_f16_sdwa v65, v8, v3 dst_sel:DWORD dst_unused:UNUSED_PAD src0_sel:WORD_1 src1_sel:DWORD
	v_fma_f16 v65, v8, v64, -v65
	v_mul_f16_sdwa v64, v8, v64 dst_sel:DWORD dst_unused:UNUSED_PAD src0_sel:WORD_1 src1_sel:DWORD
	v_fma_f16 v3, v8, v3, v64
	s_waitcnt lgkmcnt(0)
	v_sub_f16_e32 v8, v0, v49
	v_lshrrev_b32_e32 v49, 16, v0
	v_sub_f16_e32 v9, v49, v9
	v_sub_f16_e32 v63, v3, v63
	;; [unrolled: 1-line block ×3, first 2 shown]
	v_fma_f16 v49, v49, 2.0, -v9
	v_fma_f16 v3, v3, 2.0, -v63
	;; [unrolled: 1-line block ×4, first 2 shown]
	v_sub_f16_e32 v3, v0, v3
	v_sub_f16_e32 v64, v49, v64
	v_fma_f16 v0, v0, 2.0, -v3
	v_fma_f16 v49, v49, 2.0, -v64
	v_pack_b32_f16 v0, v0, v49
	v_add_f16_e32 v10, v8, v10
	v_sub_f16_e32 v49, v9, v63
	v_fma_f16 v8, v8, 2.0, -v10
	v_fma_f16 v9, v9, 2.0, -v49
	v_pack_b32_f16 v8, v8, v9
	s_barrier
	ds_write2_b32 v11, v0, v8 offset1:36
	v_pack_b32_f16 v0, v3, v64
	v_pack_b32_f16 v3, v10, v49
	ds_write2_b32 v11, v0, v3 offset0:72 offset1:108
	v_lshrrev_b32_e32 v3, 16, v1
	v_sub_f16_e32 v0, v1, v13
	v_sub_f16_e32 v8, v3, v12
	;; [unrolled: 1-line block ×4, first 2 shown]
	v_fma_f16 v1, v1, 2.0, -v0
	v_fma_f16 v3, v3, 2.0, -v8
	;; [unrolled: 1-line block ×4, first 2 shown]
	v_sub_f16_e32 v7, v1, v7
	v_sub_f16_e32 v6, v3, v6
	v_fma_f16 v1, v1, 2.0, -v7
	v_fma_f16 v3, v3, 2.0, -v6
	v_pack_b32_f16 v1, v1, v3
	v_add_f16_e32 v3, v0, v9
	v_sub_f16_e32 v4, v8, v4
	v_fma_f16 v0, v0, 2.0, -v3
	v_fma_f16 v8, v8, 2.0, -v4
	v_pack_b32_f16 v0, v0, v8
	ds_write2_b32 v19, v1, v0 offset1:36
	v_pack_b32_f16 v0, v7, v6
	v_pack_b32_f16 v1, v3, v4
	ds_write2_b32 v19, v0, v1 offset0:72 offset1:108
	v_lshrrev_b32_e32 v0, 16, v2
	v_sub_f16_e32 v1, v2, v17
	v_sub_f16_e32 v3, v0, v18
	;; [unrolled: 1-line block ×4, first 2 shown]
	v_fma_f16 v2, v2, 2.0, -v1
	v_fma_f16 v0, v0, 2.0, -v3
	;; [unrolled: 1-line block ×4, first 2 shown]
	v_sub_f16_e32 v6, v2, v6
	v_sub_f16_e32 v7, v0, v7
	v_add_f16_e32 v5, v1, v5
	v_sub_f16_e32 v4, v3, v4
	v_fma_f16 v2, v2, 2.0, -v6
	v_fma_f16 v0, v0, 2.0, -v7
	;; [unrolled: 1-line block ×4, first 2 shown]
	v_pack_b32_f16 v0, v2, v0
	v_pack_b32_f16 v1, v1, v3
	ds_write2_b32 v27, v0, v1 offset1:36
	v_pack_b32_f16 v0, v6, v7
	v_pack_b32_f16 v1, v5, v4
	ds_write2_b32 v27, v0, v1 offset0:72 offset1:108
	s_waitcnt lgkmcnt(0)
	s_barrier
	ds_read2st64_b32 v[0:1], v44 offset0:12 offset1:15
	ds_read2st64_b32 v[2:3], v44 offset0:18 offset1:21
	;; [unrolled: 1-line block ×3, first 2 shown]
	v_mov_b32_e32 v49, v50
	s_waitcnt lgkmcnt(2)
	v_lshrrev_b32_e32 v6, 16, v0
	v_mul_f16_sdwa v9, v32, v6 dst_sel:DWORD dst_unused:UNUSED_PAD src0_sel:WORD_1 src1_sel:DWORD
	v_fma_f16 v9, v32, v0, v9
	v_mul_f16_sdwa v0, v32, v0 dst_sel:DWORD dst_unused:UNUSED_PAD src0_sel:WORD_1 src1_sel:DWORD
	s_waitcnt lgkmcnt(1)
	v_lshrrev_b32_e32 v7, 16, v3
	v_fma_f16 v6, v32, v6, -v0
	v_mul_f16_sdwa v0, v33, v3 dst_sel:DWORD dst_unused:UNUSED_PAD src0_sel:WORD_1 src1_sel:DWORD
	v_fma_f16 v10, v33, v7, -v0
	v_mul_f16_sdwa v0, v33, v7 dst_sel:DWORD dst_unused:UNUSED_PAD src0_sel:WORD_1 src1_sel:DWORD
	s_waitcnt lgkmcnt(0)
	v_lshrrev_b32_e32 v8, 16, v4
	v_fma_f16 v7, v33, v3, v0
	v_mul_f16_sdwa v0, v34, v4 dst_sel:DWORD dst_unused:UNUSED_PAD src0_sel:WORD_1 src1_sel:DWORD
	v_fma_f16 v11, v34, v8, -v0
	v_mul_f16_sdwa v0, v34, v8 dst_sel:DWORD dst_unused:UNUSED_PAD src0_sel:WORD_1 src1_sel:DWORD
	v_fma_f16 v4, v34, v4, v0
	v_lshrrev_b32_e32 v0, 16, v1
	v_mul_f16_sdwa v3, v36, v0 dst_sel:DWORD dst_unused:UNUSED_PAD src0_sel:WORD_1 src1_sel:DWORD
	v_fma_f16 v8, v36, v1, v3
	v_mul_f16_sdwa v1, v36, v1 dst_sel:DWORD dst_unused:UNUSED_PAD src0_sel:WORD_1 src1_sel:DWORD
	v_fma_f16 v12, v36, v0, -v1
	ds_read2st64_b32 v[0:1], v44 offset0:24 offset1:27
	v_lshrrev_b32_e32 v3, 16, v5
	v_mul_f16_sdwa v13, v38, v3 dst_sel:DWORD dst_unused:UNUSED_PAD src0_sel:WORD_1 src1_sel:DWORD
	v_fma_f16 v13, v38, v5, v13
	v_mul_f16_sdwa v5, v38, v5 dst_sel:DWORD dst_unused:UNUSED_PAD src0_sel:WORD_1 src1_sel:DWORD
	v_fma_f16 v5, v38, v3, -v5
	s_waitcnt lgkmcnt(0)
	v_lshrrev_b32_e32 v3, 16, v0
	v_mul_f16_sdwa v14, v37, v0 dst_sel:DWORD dst_unused:UNUSED_PAD src0_sel:WORD_1 src1_sel:DWORD
	v_fma_f16 v14, v37, v3, -v14
	v_mul_f16_sdwa v3, v37, v3 dst_sel:DWORD dst_unused:UNUSED_PAD src0_sel:WORD_1 src1_sel:DWORD
	v_fma_f16 v15, v37, v0, v3
	v_lshrrev_b32_e32 v0, 16, v2
	v_mul_f16_sdwa v3, v21, v0 dst_sel:DWORD dst_unused:UNUSED_PAD src0_sel:WORD_1 src1_sel:DWORD
	v_fma_f16 v16, v21, v2, v3
	v_mul_f16_sdwa v2, v21, v2 dst_sel:DWORD dst_unused:UNUSED_PAD src0_sel:WORD_1 src1_sel:DWORD
	v_fma_f16 v17, v21, v0, -v2
	v_lshrrev_b32_e32 v0, 16, v1
	ds_read2st64_b32 v[2:3], v44 offset0:6 offset1:9
	v_mul_f16_sdwa v18, v22, v0 dst_sel:DWORD dst_unused:UNUSED_PAD src0_sel:WORD_1 src1_sel:DWORD
	v_fma_f16 v18, v22, v1, v18
	v_mul_f16_sdwa v1, v22, v1 dst_sel:DWORD dst_unused:UNUSED_PAD src0_sel:WORD_1 src1_sel:DWORD
	v_fma_f16 v19, v22, v0, -v1
	ds_read2st64_b32 v[0:1], v44 offset1:3
	s_waitcnt lgkmcnt(1)
	v_lshrrev_b32_e32 v21, 16, v3
	v_mul_f16_sdwa v22, v20, v3 dst_sel:DWORD dst_unused:UNUSED_PAD src0_sel:WORD_1 src1_sel:DWORD
	v_fma_f16 v22, v20, v21, -v22
	v_mul_f16_sdwa v21, v20, v21 dst_sel:DWORD dst_unused:UNUSED_PAD src0_sel:WORD_1 src1_sel:DWORD
	v_fma_f16 v3, v20, v3, v21
	s_waitcnt lgkmcnt(0)
	v_lshrrev_b32_e32 v20, 16, v0
	v_sub_f16_e32 v16, v0, v16
	v_sub_f16_e32 v17, v20, v17
	;; [unrolled: 1-line block ×4, first 2 shown]
	v_fma_f16 v20, v20, 2.0, -v17
	v_fma_f16 v3, v3, 2.0, -v18
	;; [unrolled: 1-line block ×4, first 2 shown]
	v_sub_f16_e32 v3, v0, v3
	v_sub_f16_e32 v21, v20, v21
	v_add_f16_e32 v19, v16, v19
	v_sub_f16_e32 v18, v17, v18
	v_fma_f16 v0, v0, 2.0, -v3
	v_fma_f16 v20, v20, 2.0, -v21
	;; [unrolled: 1-line block ×4, first 2 shown]
	v_pack_b32_f16 v0, v0, v20
	v_pack_b32_f16 v16, v16, v17
	s_barrier
	ds_write2_b32 v47, v0, v16 offset1:144
	v_lshrrev_b32_e32 v0, 16, v1
	v_sub_f16_e32 v7, v1, v7
	v_sub_f16_e32 v10, v0, v10
	;; [unrolled: 1-line block ×4, first 2 shown]
	v_fma_f16 v1, v1, 2.0, -v7
	v_lshrrev_b32_e32 v16, 16, v2
	v_fma_f16 v0, v0, 2.0, -v10
	v_fma_f16 v9, v9, 2.0, -v4
	;; [unrolled: 1-line block ×3, first 2 shown]
	v_sub_f16_e32 v9, v1, v9
	v_sub_f16_e32 v6, v0, v6
	v_add_f16_e32 v11, v7, v11
	v_sub_f16_e32 v4, v10, v4
	v_sub_f16_e32 v15, v2, v15
	v_sub_f16_e32 v14, v16, v14
	v_sub_f16_e32 v13, v8, v13
	v_sub_f16_e32 v5, v12, v5
	v_fma_f16 v1, v1, 2.0, -v9
	v_fma_f16 v0, v0, 2.0, -v6
	;; [unrolled: 1-line block ×8, first 2 shown]
	v_sub_f16_e32 v8, v2, v8
	v_sub_f16_e32 v12, v16, v12
	v_add_f16_e32 v5, v15, v5
	v_sub_f16_e32 v13, v14, v13
	v_pack_b32_f16 v3, v3, v21
	v_pack_b32_f16 v17, v19, v18
	;; [unrolled: 1-line block ×4, first 2 shown]
	v_fma_f16 v2, v2, 2.0, -v8
	v_fma_f16 v16, v16, 2.0, -v12
	v_fma_f16 v15, v15, 2.0, -v5
	v_fma_f16 v14, v14, 2.0, -v13
	ds_write2_b32 v68, v3, v17 offset0:32 offset1:176
	ds_write2_b32 v69, v0, v1 offset1:144
	v_pack_b32_f16 v0, v9, v6
	v_pack_b32_f16 v1, v11, v4
	ds_write2_b32 v70, v0, v1 offset0:32 offset1:176
	v_pack_b32_f16 v0, v2, v16
	v_pack_b32_f16 v1, v15, v14
	ds_write2_b32 v71, v0, v1 offset1:144
	v_pack_b32_f16 v0, v8, v12
	v_pack_b32_f16 v1, v5, v13
	ds_write2_b32 v72, v0, v1 offset0:32 offset1:176
	s_waitcnt lgkmcnt(0)
	s_barrier
	ds_read2st64_b32 v[0:1], v44 offset1:3
	ds_read2st64_b32 v[2:3], v44 offset0:6 offset1:9
	ds_read2st64_b32 v[4:5], v44 offset0:18 offset1:21
	ds_read2st64_b32 v[8:9], v44 offset0:12 offset1:15
	ds_read2st64_b32 v[10:11], v44 offset0:30 offset1:33
	ds_read2st64_b32 v[6:7], v44 offset0:24 offset1:27
	s_waitcnt lgkmcnt(4)
	v_lshrrev_b32_e32 v13, 16, v3
	v_mul_f16_sdwa v27, v28, v13 dst_sel:DWORD dst_unused:UNUSED_PAD src0_sel:WORD_1 src1_sel:DWORD
	s_waitcnt lgkmcnt(2)
	v_lshrrev_b32_e32 v17, 16, v8
	v_fma_f16 v27, v28, v3, v27
	v_mul_f16_sdwa v3, v28, v3 dst_sel:DWORD dst_unused:UNUSED_PAD src0_sel:WORD_1 src1_sel:DWORD
	v_fma_f16 v3, v28, v13, -v3
	v_mul_f16_sdwa v28, v24, v17 dst_sel:DWORD dst_unused:UNUSED_PAD src0_sel:WORD_1 src1_sel:DWORD
	v_lshrrev_b32_e32 v18, 16, v5
	v_fma_f16 v28, v24, v8, v28
	v_mul_f16_sdwa v8, v24, v8 dst_sel:DWORD dst_unused:UNUSED_PAD src0_sel:WORD_1 src1_sel:DWORD
	v_fma_f16 v8, v24, v17, -v8
	v_mul_f16_sdwa v17, v25, v18 dst_sel:DWORD dst_unused:UNUSED_PAD src0_sel:WORD_1 src1_sel:DWORD
	s_waitcnt lgkmcnt(1)
	v_lshrrev_b32_e32 v19, 16, v10
	v_fma_f16 v17, v25, v5, v17
	v_mul_f16_sdwa v5, v25, v5 dst_sel:DWORD dst_unused:UNUSED_PAD src0_sel:WORD_1 src1_sel:DWORD
	v_lshrrev_b32_e32 v14, 16, v4
	v_fma_f16 v5, v25, v18, -v5
	v_mul_f16_sdwa v18, v26, v19 dst_sel:DWORD dst_unused:UNUSED_PAD src0_sel:WORD_1 src1_sel:DWORD
	v_lshrrev_b32_e32 v21, 16, v9
	v_mul_f16_sdwa v13, v29, v14 dst_sel:DWORD dst_unused:UNUSED_PAD src0_sel:WORD_1 src1_sel:DWORD
	v_fma_f16 v18, v26, v10, v18
	v_mul_f16_sdwa v10, v26, v10 dst_sel:DWORD dst_unused:UNUSED_PAD src0_sel:WORD_1 src1_sel:DWORD
	v_fma_f16 v13, v29, v4, v13
	v_mul_f16_sdwa v4, v29, v4 dst_sel:DWORD dst_unused:UNUSED_PAD src0_sel:WORD_1 src1_sel:DWORD
	v_fma_f16 v10, v26, v19, -v10
	v_mul_f16_sdwa v19, v40, v21 dst_sel:DWORD dst_unused:UNUSED_PAD src0_sel:WORD_1 src1_sel:DWORD
	s_waitcnt lgkmcnt(0)
	v_lshrrev_b32_e32 v15, 16, v7
	v_lshrrev_b32_e32 v22, 16, v6
	v_fma_f16 v4, v29, v14, -v4
	v_mul_f16_sdwa v14, v30, v7 dst_sel:DWORD dst_unused:UNUSED_PAD src0_sel:WORD_1 src1_sel:DWORD
	v_fma_f16 v19, v40, v9, v19
	v_mul_f16_sdwa v9, v40, v9 dst_sel:DWORD dst_unused:UNUSED_PAD src0_sel:WORD_1 src1_sel:DWORD
	v_fma_f16 v14, v30, v15, -v14
	v_mul_f16_sdwa v15, v30, v15 dst_sel:DWORD dst_unused:UNUSED_PAD src0_sel:WORD_1 src1_sel:DWORD
	v_fma_f16 v9, v40, v21, -v9
	v_mul_f16_sdwa v21, v41, v22 dst_sel:DWORD dst_unused:UNUSED_PAD src0_sel:WORD_1 src1_sel:DWORD
	v_fma_f16 v7, v30, v7, v15
	v_lshrrev_b32_e32 v15, 16, v11
	v_fma_f16 v21, v41, v6, v21
	v_mul_f16_sdwa v6, v41, v6 dst_sel:DWORD dst_unused:UNUSED_PAD src0_sel:WORD_1 src1_sel:DWORD
	v_fma_f16 v6, v41, v22, -v6
	v_mul_f16_sdwa v22, v42, v15 dst_sel:DWORD dst_unused:UNUSED_PAD src0_sel:WORD_1 src1_sel:DWORD
	v_fma_f16 v22, v42, v11, v22
	v_mul_f16_sdwa v11, v42, v11 dst_sel:DWORD dst_unused:UNUSED_PAD src0_sel:WORD_1 src1_sel:DWORD
	v_lshrrev_b32_e32 v12, 16, v0
	v_lshrrev_b32_e32 v16, 16, v1
	;; [unrolled: 1-line block ×3, first 2 shown]
	v_fma_f16 v11, v42, v15, -v11
	v_sub_f16_e32 v13, v0, v13
	v_sub_f16_e32 v4, v12, v4
	;; [unrolled: 1-line block ×12, first 2 shown]
	v_fma_f16 v0, v0, 2.0, -v13
	v_fma_f16 v12, v12, 2.0, -v4
	;; [unrolled: 1-line block ×12, first 2 shown]
	v_sub_f16_e32 v15, v0, v15
	v_sub_f16_e32 v3, v12, v3
	v_add_f16_e32 v14, v13, v14
	v_sub_f16_e32 v7, v4, v7
	v_sub_f16_e32 v24, v1, v24
	;; [unrolled: 1-line block ×5, first 2 shown]
	v_fma_f16 v0, v0, 2.0, -v15
	v_fma_f16 v12, v12, 2.0, -v3
	;; [unrolled: 1-line block ×6, first 2 shown]
	v_add_f16_e32 v10, v17, v10
	v_sub_f16_e32 v18, v5, v18
	v_fma_f16 v2, v2, 2.0, -v19
	v_fma_f16 v20, v20, 2.0, -v9
	v_add_f16_e32 v11, v21, v11
	v_sub_f16_e32 v22, v6, v22
	v_pack_b32_f16 v3, v15, v3
	v_fma_f16 v17, v17, 2.0, -v10
	v_fma_f16 v5, v5, 2.0, -v18
	;; [unrolled: 1-line block ×4, first 2 shown]
	v_pack_b32_f16 v0, v0, v12
	v_pack_b32_f16 v4, v13, v4
	ds_write_b32 v44, v3 offset:4608
	v_pack_b32_f16 v3, v14, v7
	v_pack_b32_f16 v1, v1, v16
	v_pack_b32_f16 v2, v2, v20
	ds_write_b32 v44, v4 offset:2304
	ds_write_b32 v44, v3 offset:6912
	ds_write2st64_b32 v44, v0, v1 offset1:3
	v_pack_b32_f16 v0, v17, v5
	v_pack_b32_f16 v3, v10, v18
	ds_write_b32 v44, v2 offset:1536
	v_pack_b32_f16 v2, v21, v6
	v_pack_b32_f16 v1, v24, v8
	ds_write_b32 v44, v3 offset:7680
	ds_write2st64_b32 v44, v0, v2 offset0:12 offset1:15
	v_pack_b32_f16 v0, v19, v9
	ds_write2st64_b32 v44, v1, v0 offset0:21 offset1:24
	v_pack_b32_f16 v0, v11, v22
	ds_write_b32 v44, v0 offset:8448
	s_waitcnt lgkmcnt(0)
	s_barrier
	ds_read2st64_b32 v[0:1], v44 offset1:3
	v_mov_b32_e32 v4, s0
	v_mov_b32_e32 v5, s1
	;; [unrolled: 1-line block ×3, first 2 shown]
	s_waitcnt lgkmcnt(0)
	v_lshrrev_b32_e32 v6, 16, v0
	v_mul_f16_sdwa v2, v62, v6 dst_sel:DWORD dst_unused:UNUSED_PAD src0_sel:WORD_1 src1_sel:DWORD
	v_fma_f16 v2, v62, v0, v2
	v_cvt_f32_f16_e32 v2, v2
	v_mul_f16_sdwa v0, v62, v0 dst_sel:DWORD dst_unused:UNUSED_PAD src0_sel:WORD_1 src1_sel:DWORD
	v_fma_f16 v0, v62, v6, -v0
	v_cvt_f32_f16_e32 v0, v0
	v_cvt_f64_f32_e32 v[2:3], v2
	v_mul_f64 v[2:3], v[2:3], s[2:3]
	v_and_or_b32 v2, v3, s7, v2
	v_cmp_ne_u32_e32 vcc, 0, v2
	v_lshrrev_b32_e32 v7, 8, v3
	v_bfe_u32 v8, v3, 20, 11
	v_cndmask_b32_e64 v2, 0, 1, vcc
	v_and_or_b32 v2, v7, s8, v2
	v_sub_u32_e32 v9, 0x3f1, v8
	v_or_b32_e32 v7, 0x1000, v2
	v_med3_i32 v9, v9, 0, 13
	v_lshrrev_b32_e32 v10, v9, v7
	v_lshlrev_b32_e32 v9, v9, v10
	v_cmp_ne_u32_e32 vcc, v9, v7
	v_add_u32_e32 v8, 0xfffffc10, v8
	v_lshl_or_b32 v9, v8, 12, v2
	v_cndmask_b32_e64 v7, 0, 1, vcc
	v_or_b32_e32 v7, v10, v7
	v_cmp_gt_i32_e32 vcc, 1, v8
	v_and_b32_sdwa v11, v3, s10 dst_sel:DWORD dst_unused:UNUSED_PAD src0_sel:WORD_1 src1_sel:DWORD
	s_nop 0
	v_cndmask_b32_e32 v7, v9, v7, vcc
	v_and_b32_e32 v9, 7, v7
	v_cmp_lt_i32_e32 vcc, 5, v9
	v_cmp_eq_u32_e64 s[0:1], 3, v9
	v_lshrrev_b32_e32 v7, 2, v7
	s_or_b64 vcc, s[0:1], vcc
	v_addc_co_u32_e32 v7, vcc, 0, v7, vcc
	v_cmp_gt_i32_e32 vcc, 31, v8
	s_nop 1
	v_cndmask_b32_e32 v7, v14, v7, vcc
	v_cmp_ne_u32_e32 vcc, 0, v2
	s_nop 1
	v_cndmask_b32_e64 v2, 0, 1, vcc
	v_lshl_or_b32 v2, v2, 9, v14
	v_cmp_eq_u32_e32 vcc, s9, v8
	s_nop 1
	v_cndmask_b32_e32 v10, v7, v2, vcc
	v_cvt_f64_f32_e32 v[2:3], v0
	v_mul_f64 v[2:3], v[2:3], s[2:3]
	v_and_or_b32 v0, v3, s7, v2
	v_cmp_ne_u32_e32 vcc, 0, v0
	v_lshrrev_b32_e32 v2, 8, v3
	v_bfe_u32 v6, v3, 20, 11
	v_cndmask_b32_e64 v0, 0, 1, vcc
	v_and_or_b32 v0, v2, s8, v0
	v_sub_u32_e32 v7, 0x3f1, v6
	v_or_b32_e32 v2, 0x1000, v0
	v_med3_i32 v7, v7, 0, 13
	v_lshrrev_b32_e32 v8, v7, v2
	v_lshlrev_b32_e32 v7, v7, v8
	v_cmp_ne_u32_e32 vcc, v7, v2
	v_add_u32_e32 v6, 0xfffffc10, v6
	v_lshl_or_b32 v7, v6, 12, v0
	v_cndmask_b32_e64 v2, 0, 1, vcc
	v_or_b32_e32 v2, v8, v2
	v_cmp_gt_i32_e32 vcc, 1, v6
	s_nop 1
	v_cndmask_b32_e32 v2, v7, v2, vcc
	v_and_b32_e32 v7, 7, v2
	v_cmp_lt_i32_e32 vcc, 5, v7
	v_cmp_eq_u32_e64 s[0:1], 3, v7
	v_lshrrev_b32_e32 v2, 2, v2
	s_or_b64 vcc, s[0:1], vcc
	v_addc_co_u32_e32 v2, vcc, 0, v2, vcc
	v_cmp_gt_i32_e32 vcc, 31, v6
	s_nop 1
	v_cndmask_b32_e32 v2, v14, v2, vcc
	v_cmp_ne_u32_e32 vcc, 0, v0
	s_nop 1
	v_cndmask_b32_e64 v0, 0, 1, vcc
	v_lshl_or_b32 v0, v0, 9, v14
	v_cmp_eq_u32_e32 vcc, s9, v6
	v_mad_u64_u32 v[6:7], s[0:1], s4, v46, 0
	s_nop 0
	v_cndmask_b32_e32 v0, v2, v0, vcc
	v_lshrrev_b32_e32 v2, 16, v3
	v_and_or_b32 v12, v2, s10, v0
	ds_read2st64_b32 v[2:3], v44 offset0:6 offset1:9
	v_mov_b32_e32 v0, v7
	v_mad_u64_u32 v[8:9], s[0:1], s5, v46, v[0:1]
	v_mov_b32_e32 v7, v8
	s_waitcnt lgkmcnt(0)
	v_lshrrev_b32_e32 v8, 16, v2
	v_mul_f16_sdwa v9, v61, v8 dst_sel:DWORD dst_unused:UNUSED_PAD src0_sel:WORD_1 src1_sel:DWORD
	v_fma_f16 v9, v61, v2, v9
	v_cvt_f32_f16_e32 v9, v9
	v_bitop3_b32 v0, v11, s6, v10 bitop3:0xc8
	v_lshl_or_b32 v0, v12, 16, v0
	v_lshl_add_u64 v[12:13], v[48:49], 2, v[4:5]
	v_cvt_f64_f32_e32 v[4:5], v9
	v_lshl_add_u64 v[6:7], v[6:7], 2, v[12:13]
	v_mul_f64 v[4:5], v[4:5], s[2:3]
	global_store_dword v[6:7], v0, off
	v_and_or_b32 v0, v5, s7, v4
	v_cmp_ne_u32_e32 vcc, 0, v0
	v_lshrrev_b32_e32 v4, 8, v5
	v_bfe_u32 v9, v5, 20, 11
	v_cndmask_b32_e64 v0, 0, 1, vcc
	v_and_or_b32 v0, v4, s8, v0
	v_sub_u32_e32 v10, 0x3f1, v9
	v_or_b32_e32 v4, 0x1000, v0
	v_med3_i32 v10, v10, 0, 13
	v_lshrrev_b32_e32 v11, v10, v4
	v_lshlrev_b32_e32 v10, v10, v11
	v_cmp_ne_u32_e32 vcc, v10, v4
	v_add_u32_e32 v9, 0xfffffc10, v9
	v_lshl_or_b32 v10, v9, 12, v0
	v_cndmask_b32_e64 v4, 0, 1, vcc
	v_or_b32_e32 v4, v11, v4
	v_cmp_gt_i32_e32 vcc, 1, v9
	v_mul_f16_sdwa v2, v61, v2 dst_sel:DWORD dst_unused:UNUSED_PAD src0_sel:WORD_1 src1_sel:DWORD
	v_fma_f16 v2, v61, v8, -v2
	v_cndmask_b32_e32 v4, v10, v4, vcc
	v_and_b32_e32 v10, 7, v4
	v_cmp_lt_i32_e32 vcc, 5, v10
	v_cmp_eq_u32_e64 s[0:1], 3, v10
	v_lshrrev_b32_e32 v4, 2, v4
	s_or_b64 vcc, s[0:1], vcc
	v_addc_co_u32_e32 v4, vcc, 0, v4, vcc
	v_cmp_gt_i32_e32 vcc, 31, v9
	v_cvt_f32_f16_e32 v2, v2
	v_and_b32_sdwa v8, v5, s10 dst_sel:DWORD dst_unused:UNUSED_PAD src0_sel:WORD_1 src1_sel:DWORD
	v_cndmask_b32_e32 v4, v14, v4, vcc
	v_cmp_ne_u32_e32 vcc, 0, v0
	s_nop 1
	v_cndmask_b32_e64 v0, 0, 1, vcc
	v_lshl_or_b32 v0, v0, 9, v14
	v_cmp_eq_u32_e32 vcc, s9, v9
	s_nop 1
	v_cndmask_b32_e32 v0, v4, v0, vcc
	v_cvt_f64_f32_e32 v[4:5], v2
	v_mul_f64 v[4:5], v[4:5], s[2:3]
	v_and_or_b32 v2, v5, s7, v4
	v_cmp_ne_u32_e32 vcc, 0, v2
	v_lshrrev_b32_e32 v4, 8, v5
	v_bfe_u32 v9, v5, 20, 11
	v_cndmask_b32_e64 v2, 0, 1, vcc
	v_and_or_b32 v2, v4, s8, v2
	v_sub_u32_e32 v10, 0x3f1, v9
	v_or_b32_e32 v4, 0x1000, v2
	v_med3_i32 v10, v10, 0, 13
	v_lshrrev_b32_e32 v11, v10, v4
	v_lshlrev_b32_e32 v10, v10, v11
	v_cmp_ne_u32_e32 vcc, v10, v4
	v_add_u32_e32 v9, 0xfffffc10, v9
	v_lshl_or_b32 v10, v9, 12, v2
	v_cndmask_b32_e64 v4, 0, 1, vcc
	v_or_b32_e32 v4, v11, v4
	v_cmp_gt_i32_e32 vcc, 1, v9
	v_bitop3_b32 v0, v8, s6, v0 bitop3:0xc8
	s_nop 0
	v_cndmask_b32_e32 v4, v10, v4, vcc
	v_and_b32_e32 v10, 7, v4
	v_cmp_lt_i32_e32 vcc, 5, v10
	v_cmp_eq_u32_e64 s[0:1], 3, v10
	v_lshrrev_b32_e32 v4, 2, v4
	s_or_b64 vcc, s[0:1], vcc
	v_addc_co_u32_e32 v4, vcc, 0, v4, vcc
	v_cmp_gt_i32_e32 vcc, 31, v9
	v_mad_u64_u32 v[10:11], s[0:1], s4, v23, v[6:7]
	s_nop 0
	v_cndmask_b32_e32 v4, v14, v4, vcc
	v_cmp_ne_u32_e32 vcc, 0, v2
	v_add_u32_e32 v11, s11, v11
	s_nop 0
	v_cndmask_b32_e64 v2, 0, 1, vcc
	v_lshl_or_b32 v2, v2, 9, v14
	v_cmp_eq_u32_e32 vcc, s9, v9
	s_nop 1
	v_cndmask_b32_e32 v2, v4, v2, vcc
	v_lshrrev_b32_e32 v4, 16, v5
	v_and_or_b32 v2, v4, s10, v2
	ds_read2st64_b32 v[4:5], v44 offset0:12 offset1:15
	v_lshl_or_b32 v0, v2, 16, v0
	global_store_dword v[10:11], v0, off
	s_waitcnt lgkmcnt(0)
	v_lshrrev_b32_e32 v2, 16, v4
	v_mul_f16_sdwa v6, v60, v2 dst_sel:DWORD dst_unused:UNUSED_PAD src0_sel:WORD_1 src1_sel:DWORD
	v_fma_f16 v6, v60, v4, v6
	v_cvt_f32_f16_e32 v6, v6
	v_mul_f16_sdwa v4, v60, v4 dst_sel:DWORD dst_unused:UNUSED_PAD src0_sel:WORD_1 src1_sel:DWORD
	v_fma_f16 v2, v60, v2, -v4
	v_cvt_f32_f16_e32 v2, v2
	v_cvt_f64_f32_e32 v[6:7], v6
	v_mul_f64 v[6:7], v[6:7], s[2:3]
	v_and_or_b32 v0, v7, s7, v6
	v_cmp_ne_u32_e32 vcc, 0, v0
	v_lshrrev_b32_e32 v6, 8, v7
	v_bfe_u32 v8, v7, 20, 11
	v_cndmask_b32_e64 v0, 0, 1, vcc
	v_and_or_b32 v0, v6, s8, v0
	v_sub_u32_e32 v9, 0x3f1, v8
	v_or_b32_e32 v6, 0x1000, v0
	v_med3_i32 v9, v9, 0, 13
	v_lshrrev_b32_e32 v15, v9, v6
	v_lshlrev_b32_e32 v9, v9, v15
	v_cmp_ne_u32_e32 vcc, v9, v6
	v_add_u32_e32 v8, 0xfffffc10, v8
	v_lshl_or_b32 v9, v8, 12, v0
	v_cndmask_b32_e64 v6, 0, 1, vcc
	v_or_b32_e32 v6, v15, v6
	v_cmp_gt_i32_e32 vcc, 1, v8
	v_and_b32_sdwa v15, v7, s10 dst_sel:DWORD dst_unused:UNUSED_PAD src0_sel:WORD_1 src1_sel:DWORD
	s_nop 0
	v_cndmask_b32_e32 v6, v9, v6, vcc
	v_and_b32_e32 v9, 7, v6
	v_cmp_lt_i32_e32 vcc, 5, v9
	v_cmp_eq_u32_e64 s[0:1], 3, v9
	v_lshrrev_b32_e32 v6, 2, v6
	s_or_b64 vcc, s[0:1], vcc
	v_addc_co_u32_e32 v6, vcc, 0, v6, vcc
	v_cmp_gt_i32_e32 vcc, 31, v8
	s_nop 1
	v_cndmask_b32_e32 v6, v14, v6, vcc
	v_cmp_ne_u32_e32 vcc, 0, v0
	s_nop 1
	v_cndmask_b32_e64 v0, 0, 1, vcc
	v_lshl_or_b32 v0, v0, 9, v14
	v_cmp_eq_u32_e32 vcc, s9, v8
	s_nop 1
	v_cndmask_b32_e32 v4, v6, v0, vcc
	v_cvt_f64_f32_e32 v[6:7], v2
	v_mul_f64 v[6:7], v[6:7], s[2:3]
	v_and_or_b32 v0, v7, s7, v6
	v_cmp_ne_u32_e32 vcc, 0, v0
	v_lshrrev_b32_e32 v2, 8, v7
	v_bfe_u32 v6, v7, 20, 11
	v_cndmask_b32_e64 v0, 0, 1, vcc
	v_and_or_b32 v0, v2, s8, v0
	v_sub_u32_e32 v8, 0x3f1, v6
	v_or_b32_e32 v2, 0x1000, v0
	v_med3_i32 v8, v8, 0, 13
	v_lshrrev_b32_e32 v9, v8, v2
	v_lshlrev_b32_e32 v8, v8, v9
	v_cmp_ne_u32_e32 vcc, v8, v2
	v_add_u32_e32 v6, 0xfffffc10, v6
	v_lshl_or_b32 v8, v6, 12, v0
	v_cndmask_b32_e64 v2, 0, 1, vcc
	v_or_b32_e32 v2, v9, v2
	v_cmp_gt_i32_e32 vcc, 1, v6
	s_nop 1
	v_cndmask_b32_e32 v2, v8, v2, vcc
	v_and_b32_e32 v8, 7, v2
	v_cmp_lt_i32_e32 vcc, 5, v8
	v_cmp_eq_u32_e64 s[0:1], 3, v8
	v_lshrrev_b32_e32 v2, 2, v2
	s_or_b64 vcc, s[0:1], vcc
	v_addc_co_u32_e32 v2, vcc, 0, v2, vcc
	v_cmp_gt_i32_e32 vcc, 31, v6
	v_mad_u64_u32 v[8:9], s[0:1], s4, v59, 0
	s_nop 0
	v_cndmask_b32_e32 v2, v14, v2, vcc
	v_cmp_ne_u32_e32 vcc, 0, v0
	s_nop 1
	v_cndmask_b32_e64 v0, 0, 1, vcc
	v_lshl_or_b32 v0, v0, 9, v14
	v_cmp_eq_u32_e32 vcc, s9, v6
	s_nop 1
	v_cndmask_b32_e32 v0, v2, v0, vcc
	v_lshrrev_b32_e32 v2, 16, v7
	ds_read2st64_b32 v[6:7], v44 offset0:18 offset1:21
	v_and_or_b32 v2, v2, s10, v0
	v_mov_b32_e32 v0, v9
	v_mad_u64_u32 v[16:17], s[0:1], s5, v59, v[0:1]
	v_bitop3_b32 v0, v15, s6, v4 bitop3:0xc8
	s_waitcnt lgkmcnt(0)
	v_lshrrev_b32_e32 v4, 16, v6
	v_mul_f16_sdwa v15, v58, v4 dst_sel:DWORD dst_unused:UNUSED_PAD src0_sel:WORD_1 src1_sel:DWORD
	v_fma_f16 v15, v58, v6, v15
	v_cvt_f32_f16_e32 v15, v15
	v_mov_b32_e32 v9, v16
	v_lshl_or_b32 v0, v2, 16, v0
	v_lshl_add_u64 v[8:9], v[8:9], 2, v[12:13]
	global_store_dword v[8:9], v0, off
	v_cvt_f64_f32_e32 v[8:9], v15
	v_mul_f64 v[8:9], v[8:9], s[2:3]
	v_and_or_b32 v0, v9, s7, v8
	v_cmp_ne_u32_e32 vcc, 0, v0
	v_lshrrev_b32_e32 v2, 8, v9
	v_bfe_u32 v8, v9, 20, 11
	v_cndmask_b32_e64 v0, 0, 1, vcc
	v_and_or_b32 v0, v2, s8, v0
	v_sub_u32_e32 v15, 0x3f1, v8
	v_or_b32_e32 v2, 0x1000, v0
	v_med3_i32 v15, v15, 0, 13
	v_lshrrev_b32_e32 v16, v15, v2
	v_lshlrev_b32_e32 v15, v15, v16
	v_cmp_ne_u32_e32 vcc, v15, v2
	v_add_u32_e32 v8, 0xfffffc10, v8
	v_lshl_or_b32 v15, v8, 12, v0
	v_cndmask_b32_e64 v2, 0, 1, vcc
	v_or_b32_e32 v2, v16, v2
	v_cmp_gt_i32_e32 vcc, 1, v8
	v_mul_f16_sdwa v6, v58, v6 dst_sel:DWORD dst_unused:UNUSED_PAD src0_sel:WORD_1 src1_sel:DWORD
	v_fma_f16 v4, v58, v4, -v6
	v_cndmask_b32_e32 v2, v15, v2, vcc
	v_and_b32_e32 v15, 7, v2
	v_cmp_lt_i32_e32 vcc, 5, v15
	v_cmp_eq_u32_e64 s[0:1], 3, v15
	v_lshrrev_b32_e32 v2, 2, v2
	s_or_b64 vcc, s[0:1], vcc
	v_addc_co_u32_e32 v2, vcc, 0, v2, vcc
	v_cmp_gt_i32_e32 vcc, 31, v8
	v_cvt_f32_f16_e32 v4, v4
	s_nop 0
	v_cndmask_b32_e32 v2, v14, v2, vcc
	v_cmp_ne_u32_e32 vcc, 0, v0
	s_nop 1
	v_cndmask_b32_e64 v0, 0, 1, vcc
	v_lshl_or_b32 v0, v0, 9, v14
	v_cmp_eq_u32_e32 vcc, s9, v8
	s_nop 1
	v_cndmask_b32_e32 v0, v2, v0, vcc
	v_and_b32_sdwa v2, v9, s10 dst_sel:DWORD dst_unused:UNUSED_PAD src0_sel:WORD_1 src1_sel:DWORD
	v_cvt_f64_f32_e32 v[8:9], v4
	v_mul_f64 v[8:9], v[8:9], s[2:3]
	v_and_or_b32 v4, v9, s7, v8
	v_cmp_ne_u32_e32 vcc, 0, v4
	v_lshrrev_b32_e32 v6, 8, v9
	v_bfe_u32 v8, v9, 20, 11
	v_cndmask_b32_e64 v4, 0, 1, vcc
	v_and_or_b32 v4, v6, s8, v4
	v_sub_u32_e32 v15, 0x3f1, v8
	v_or_b32_e32 v6, 0x1000, v4
	v_med3_i32 v15, v15, 0, 13
	v_lshrrev_b32_e32 v16, v15, v6
	v_lshlrev_b32_e32 v15, v15, v16
	v_cmp_ne_u32_e32 vcc, v15, v6
	v_add_u32_e32 v8, 0xfffffc10, v8
	v_lshl_or_b32 v15, v8, 12, v4
	v_cndmask_b32_e64 v6, 0, 1, vcc
	v_or_b32_e32 v6, v16, v6
	v_cmp_gt_i32_e32 vcc, 1, v8
	v_bitop3_b32 v0, v2, s6, v0 bitop3:0xc8
	s_nop 0
	v_cndmask_b32_e32 v6, v15, v6, vcc
	v_and_b32_e32 v15, 7, v6
	v_cmp_lt_i32_e32 vcc, 5, v15
	v_cmp_eq_u32_e64 s[0:1], 3, v15
	v_lshrrev_b32_e32 v6, 2, v6
	s_or_b64 vcc, s[0:1], vcc
	v_addc_co_u32_e32 v6, vcc, 0, v6, vcc
	v_cmp_gt_i32_e32 vcc, 31, v8
	v_mad_u64_u32 v[16:17], s[0:1], s4, v53, v[10:11]
	s_nop 0
	v_cndmask_b32_e32 v6, v14, v6, vcc
	v_cmp_ne_u32_e32 vcc, 0, v4
	v_add_u32_e32 v17, s12, v17
	s_nop 0
	v_cndmask_b32_e64 v4, 0, 1, vcc
	v_lshl_or_b32 v4, v4, 9, v14
	v_cmp_eq_u32_e32 vcc, s9, v8
	s_nop 1
	v_cndmask_b32_e32 v4, v6, v4, vcc
	v_lshrrev_b32_e32 v6, 16, v9
	ds_read2st64_b32 v[8:9], v44 offset0:24 offset1:27
	v_and_or_b32 v4, v6, s10, v4
	v_lshl_or_b32 v0, v4, 16, v0
	global_store_dword v[16:17], v0, off
	s_waitcnt lgkmcnt(0)
	v_lshrrev_b32_e32 v2, 16, v8
	v_mul_f16_sdwa v4, v57, v2 dst_sel:DWORD dst_unused:UNUSED_PAD src0_sel:WORD_1 src1_sel:DWORD
	v_fma_f16 v4, v57, v8, v4
	v_cvt_f32_f16_e32 v4, v4
	v_mul_f16_sdwa v8, v57, v8 dst_sel:DWORD dst_unused:UNUSED_PAD src0_sel:WORD_1 src1_sel:DWORD
	v_fma_f16 v2, v57, v2, -v8
	v_cvt_f32_f16_e32 v2, v2
	v_cvt_f64_f32_e32 v[10:11], v4
	v_mul_f64 v[10:11], v[10:11], s[2:3]
	v_and_or_b32 v0, v11, s7, v10
	v_cmp_ne_u32_e32 vcc, 0, v0
	v_lshrrev_b32_e32 v4, 8, v11
	v_bfe_u32 v6, v11, 20, 11
	v_cndmask_b32_e64 v0, 0, 1, vcc
	v_and_or_b32 v0, v4, s8, v0
	v_sub_u32_e32 v10, 0x3f1, v6
	v_or_b32_e32 v4, 0x1000, v0
	v_med3_i32 v10, v10, 0, 13
	v_lshrrev_b32_e32 v15, v10, v4
	v_lshlrev_b32_e32 v10, v10, v15
	v_cmp_ne_u32_e32 vcc, v10, v4
	v_add_u32_e32 v6, 0xfffffc10, v6
	v_lshl_or_b32 v10, v6, 12, v0
	v_cndmask_b32_e64 v4, 0, 1, vcc
	v_or_b32_e32 v4, v15, v4
	v_cmp_gt_i32_e32 vcc, 1, v6
	s_nop 1
	v_cndmask_b32_e32 v4, v10, v4, vcc
	v_and_b32_e32 v10, 7, v4
	v_cmp_lt_i32_e32 vcc, 5, v10
	v_cmp_eq_u32_e64 s[0:1], 3, v10
	v_lshrrev_b32_e32 v4, 2, v4
	s_or_b64 vcc, s[0:1], vcc
	v_addc_co_u32_e32 v4, vcc, 0, v4, vcc
	v_cmp_gt_i32_e32 vcc, 31, v6
	s_nop 1
	v_cndmask_b32_e32 v4, v14, v4, vcc
	v_cmp_ne_u32_e32 vcc, 0, v0
	s_nop 1
	v_cndmask_b32_e64 v0, 0, 1, vcc
	v_cmp_eq_u32_e32 vcc, s9, v6
	v_and_b32_sdwa v6, v11, s10 dst_sel:DWORD dst_unused:UNUSED_PAD src0_sel:WORD_1 src1_sel:DWORD
	v_cvt_f64_f32_e32 v[10:11], v2
	v_lshl_or_b32 v0, v0, 9, v14
	v_mul_f64 v[10:11], v[10:11], s[2:3]
	v_cndmask_b32_e32 v4, v4, v0, vcc
	v_and_or_b32 v0, v11, s7, v10
	v_cmp_ne_u32_e32 vcc, 0, v0
	v_lshrrev_b32_e32 v2, 8, v11
	v_bfe_u32 v8, v11, 20, 11
	v_cndmask_b32_e64 v0, 0, 1, vcc
	v_and_or_b32 v0, v2, s8, v0
	v_sub_u32_e32 v10, 0x3f1, v8
	v_or_b32_e32 v2, 0x1000, v0
	v_med3_i32 v10, v10, 0, 13
	v_lshrrev_b32_e32 v15, v10, v2
	v_lshlrev_b32_e32 v10, v10, v15
	v_cmp_ne_u32_e32 vcc, v10, v2
	v_add_u32_e32 v8, 0xfffffc10, v8
	v_lshl_or_b32 v10, v8, 12, v0
	v_cndmask_b32_e64 v2, 0, 1, vcc
	v_or_b32_e32 v2, v15, v2
	v_cmp_gt_i32_e32 vcc, 1, v8
	s_nop 1
	v_cndmask_b32_e32 v2, v10, v2, vcc
	v_and_b32_e32 v10, 7, v2
	v_cmp_lt_i32_e32 vcc, 5, v10
	v_cmp_eq_u32_e64 s[0:1], 3, v10
	v_lshrrev_b32_e32 v2, 2, v2
	s_or_b64 vcc, s[0:1], vcc
	v_addc_co_u32_e32 v2, vcc, 0, v2, vcc
	v_cmp_gt_i32_e32 vcc, 31, v8
	v_mad_u64_u32 v[18:19], s[0:1], s4, v56, 0
	s_nop 0
	v_cndmask_b32_e32 v2, v14, v2, vcc
	v_cmp_ne_u32_e32 vcc, 0, v0
	s_nop 1
	v_cndmask_b32_e64 v0, 0, 1, vcc
	v_lshl_or_b32 v0, v0, 9, v14
	v_cmp_eq_u32_e32 vcc, s9, v8
	s_nop 1
	v_cndmask_b32_e32 v0, v2, v0, vcc
	v_lshrrev_b32_e32 v2, 16, v11
	ds_read2st64_b32 v[10:11], v44 offset0:30 offset1:33
	v_and_or_b32 v2, v2, s10, v0
	v_mov_b32_e32 v0, v19
	v_mad_u64_u32 v[20:21], s[0:1], s5, v56, v[0:1]
	v_bitop3_b32 v0, v6, s6, v4 bitop3:0xc8
	s_waitcnt lgkmcnt(0)
	v_lshrrev_b32_e32 v4, 16, v10
	v_mul_f16_sdwa v6, v55, v4 dst_sel:DWORD dst_unused:UNUSED_PAD src0_sel:WORD_1 src1_sel:DWORD
	v_fma_f16 v6, v55, v10, v6
	v_cvt_f32_f16_e32 v6, v6
	v_mov_b32_e32 v19, v20
	v_lshl_or_b32 v0, v2, 16, v0
	v_lshl_add_u64 v[12:13], v[18:19], 2, v[12:13]
	global_store_dword v[12:13], v0, off
	v_cvt_f64_f32_e32 v[12:13], v6
	v_mul_f64 v[12:13], v[12:13], s[2:3]
	v_and_or_b32 v0, v13, s7, v12
	v_cmp_ne_u32_e32 vcc, 0, v0
	v_lshrrev_b32_e32 v2, 8, v13
	v_bfe_u32 v6, v13, 20, 11
	v_cndmask_b32_e64 v0, 0, 1, vcc
	v_and_or_b32 v0, v2, s8, v0
	v_sub_u32_e32 v8, 0x3f1, v6
	v_or_b32_e32 v2, 0x1000, v0
	v_med3_i32 v8, v8, 0, 13
	v_lshrrev_b32_e32 v12, v8, v2
	v_lshlrev_b32_e32 v8, v8, v12
	v_cmp_ne_u32_e32 vcc, v8, v2
	v_add_u32_e32 v6, 0xfffffc10, v6
	v_lshl_or_b32 v8, v6, 12, v0
	v_cndmask_b32_e64 v2, 0, 1, vcc
	v_or_b32_e32 v2, v12, v2
	v_cmp_gt_i32_e32 vcc, 1, v6
	s_nop 1
	v_cndmask_b32_e32 v2, v8, v2, vcc
	v_and_b32_e32 v8, 7, v2
	v_cmp_lt_i32_e32 vcc, 5, v8
	v_cmp_eq_u32_e64 s[0:1], 3, v8
	v_lshrrev_b32_e32 v2, 2, v2
	s_or_b64 vcc, s[0:1], vcc
	v_mul_f16_sdwa v8, v55, v10 dst_sel:DWORD dst_unused:UNUSED_PAD src0_sel:WORD_1 src1_sel:DWORD
	v_addc_co_u32_e32 v2, vcc, 0, v2, vcc
	v_fma_f16 v4, v55, v4, -v8
	v_cmp_gt_i32_e32 vcc, 31, v6
	v_cvt_f32_f16_e32 v4, v4
	s_nop 0
	v_cndmask_b32_e32 v2, v14, v2, vcc
	v_cmp_ne_u32_e32 vcc, 0, v0
	s_nop 1
	v_cndmask_b32_e64 v0, 0, 1, vcc
	v_lshl_or_b32 v0, v0, 9, v14
	v_cmp_eq_u32_e32 vcc, s9, v6
	s_nop 1
	v_cndmask_b32_e32 v0, v2, v0, vcc
	v_and_b32_sdwa v2, v13, s10 dst_sel:DWORD dst_unused:UNUSED_PAD src0_sel:WORD_1 src1_sel:DWORD
	v_cvt_f64_f32_e32 v[12:13], v4
	v_mul_f64 v[12:13], v[12:13], s[2:3]
	v_and_or_b32 v4, v13, s7, v12
	v_cmp_ne_u32_e32 vcc, 0, v4
	v_lshrrev_b32_e32 v6, 8, v13
	v_bfe_u32 v8, v13, 20, 11
	v_cndmask_b32_e64 v4, 0, 1, vcc
	v_and_or_b32 v4, v6, s8, v4
	v_sub_u32_e32 v10, 0x3f1, v8
	v_or_b32_e32 v6, 0x1000, v4
	v_med3_i32 v10, v10, 0, 13
	v_lshrrev_b32_e32 v12, v10, v6
	v_lshlrev_b32_e32 v10, v10, v12
	v_cmp_ne_u32_e32 vcc, v10, v6
	v_add_u32_e32 v8, 0xfffffc10, v8
	v_lshl_or_b32 v10, v8, 12, v4
	v_cndmask_b32_e64 v6, 0, 1, vcc
	v_or_b32_e32 v6, v12, v6
	v_cmp_gt_i32_e32 vcc, 1, v8
	v_bitop3_b32 v0, v2, s6, v0 bitop3:0xc8
	v_lshrrev_b32_e32 v2, 16, v1
	v_cndmask_b32_e32 v6, v10, v6, vcc
	v_and_b32_e32 v10, 7, v6
	v_cmp_lt_i32_e32 vcc, 5, v10
	v_cmp_eq_u32_e64 s[0:1], 3, v10
	v_lshrrev_b32_e32 v6, 2, v6
	s_or_b64 vcc, s[0:1], vcc
	v_addc_co_u32_e32 v6, vcc, 0, v6, vcc
	v_cmp_gt_i32_e32 vcc, 31, v8
	s_nop 1
	v_cndmask_b32_e32 v6, v14, v6, vcc
	v_cmp_ne_u32_e32 vcc, 0, v4
	s_nop 1
	v_cndmask_b32_e64 v4, 0, 1, vcc
	v_lshl_or_b32 v4, v4, 9, v14
	v_cmp_eq_u32_e32 vcc, s9, v8
	s_nop 1
	v_cndmask_b32_e32 v4, v6, v4, vcc
	v_lshrrev_b32_e32 v6, 16, v13
	v_and_or_b32 v4, v6, s10, v4
	v_lshl_or_b32 v0, v4, 16, v0
	v_mul_f16_sdwa v4, v54, v2 dst_sel:DWORD dst_unused:UNUSED_PAD src0_sel:WORD_1 src1_sel:DWORD
	v_fma_f16 v4, v54, v1, v4
	v_cvt_f32_f16_e32 v4, v4
	v_mad_u64_u32 v[12:13], s[0:1], s4, v53, v[16:17]
	v_add_u32_e32 v13, s12, v13
	v_cvt_f64_f32_e32 v[16:17], v4
	v_mul_f64 v[16:17], v[16:17], s[2:3]
	global_store_dword v[12:13], v0, off
	v_and_or_b32 v0, v17, s7, v16
	v_cmp_ne_u32_e32 vcc, 0, v0
	v_lshrrev_b32_e32 v4, 8, v17
	v_bfe_u32 v6, v17, 20, 11
	v_cndmask_b32_e64 v0, 0, 1, vcc
	v_and_or_b32 v0, v4, s8, v0
	v_sub_u32_e32 v8, 0x3f1, v6
	v_or_b32_e32 v4, 0x1000, v0
	v_med3_i32 v8, v8, 0, 13
	v_lshrrev_b32_e32 v10, v8, v4
	v_lshlrev_b32_e32 v8, v8, v10
	v_cmp_ne_u32_e32 vcc, v8, v4
	v_add_u32_e32 v6, 0xfffffc10, v6
	v_lshl_or_b32 v8, v6, 12, v0
	v_cndmask_b32_e64 v4, 0, 1, vcc
	v_or_b32_e32 v4, v10, v4
	v_cmp_gt_i32_e32 vcc, 1, v6
	v_mul_f16_sdwa v1, v54, v1 dst_sel:DWORD dst_unused:UNUSED_PAD src0_sel:WORD_1 src1_sel:DWORD
	v_fma_f16 v1, v54, v2, -v1
	v_cndmask_b32_e32 v4, v8, v4, vcc
	v_and_b32_e32 v8, 7, v4
	v_cmp_lt_i32_e32 vcc, 5, v8
	v_cmp_eq_u32_e64 s[0:1], 3, v8
	v_lshrrev_b32_e32 v4, 2, v4
	s_or_b64 vcc, s[0:1], vcc
	v_addc_co_u32_e32 v4, vcc, 0, v4, vcc
	v_cmp_gt_i32_e32 vcc, 31, v6
	v_cvt_f32_f16_e32 v1, v1
	s_nop 0
	v_cndmask_b32_e32 v4, v14, v4, vcc
	v_cmp_ne_u32_e32 vcc, 0, v0
	s_nop 1
	v_cndmask_b32_e64 v0, 0, 1, vcc
	v_lshl_or_b32 v0, v0, 9, v14
	v_cmp_eq_u32_e32 vcc, s9, v6
	s_nop 1
	v_cndmask_b32_e32 v2, v4, v0, vcc
	v_cvt_f64_f32_e32 v[0:1], v1
	v_mul_f64 v[0:1], v[0:1], s[2:3]
	v_and_or_b32 v0, v1, s7, v0
	v_cmp_ne_u32_e32 vcc, 0, v0
	v_lshrrev_b32_e32 v6, 8, v1
	v_bfe_u32 v8, v1, 20, 11
	v_cndmask_b32_e64 v0, 0, 1, vcc
	v_and_or_b32 v0, v6, s8, v0
	v_sub_u32_e32 v10, 0x3f1, v8
	v_or_b32_e32 v6, 0x1000, v0
	v_med3_i32 v10, v10, 0, 13
	v_lshrrev_b32_e32 v15, v10, v6
	v_lshlrev_b32_e32 v10, v10, v15
	v_cmp_ne_u32_e32 vcc, v10, v6
	v_add_u32_e32 v8, 0xfffffc10, v8
	v_lshl_or_b32 v10, v8, 12, v0
	v_cndmask_b32_e64 v6, 0, 1, vcc
	v_or_b32_e32 v6, v15, v6
	v_cmp_gt_i32_e32 vcc, 1, v8
	v_and_b32_sdwa v4, v17, s10 dst_sel:DWORD dst_unused:UNUSED_PAD src0_sel:WORD_1 src1_sel:DWORD
	v_lshrrev_b32_e32 v1, 16, v1
	v_cndmask_b32_e32 v6, v10, v6, vcc
	v_and_b32_e32 v10, 7, v6
	v_cmp_lt_i32_e32 vcc, 5, v10
	v_cmp_eq_u32_e64 s[0:1], 3, v10
	v_lshrrev_b32_e32 v6, 2, v6
	s_or_b64 vcc, s[0:1], vcc
	v_addc_co_u32_e32 v6, vcc, 0, v6, vcc
	v_cmp_gt_i32_e32 vcc, 31, v8
	s_nop 1
	v_cndmask_b32_e32 v6, v14, v6, vcc
	v_cmp_ne_u32_e32 vcc, 0, v0
	s_nop 1
	v_cndmask_b32_e64 v0, 0, 1, vcc
	v_lshl_or_b32 v0, v0, 9, v14
	v_cmp_eq_u32_e32 vcc, s9, v8
	s_nop 1
	v_cndmask_b32_e32 v0, v6, v0, vcc
	v_and_or_b32 v0, v1, s10, v0
	v_bitop3_b32 v1, v4, s6, v2 bitop3:0xc8
	v_lshrrev_b32_e32 v4, 16, v3
	v_mul_f16_sdwa v6, v51, v4 dst_sel:DWORD dst_unused:UNUSED_PAD src0_sel:WORD_1 src1_sel:DWORD
	v_fma_f16 v6, v51, v3, v6
	v_cvt_f32_f16_e32 v6, v6
	v_lshl_or_b32 v2, v0, 16, v1
	v_mad_u64_u32 v[0:1], s[0:1], s4, v52, v[12:13]
	s_mul_i32 s0, s5, 0xffffe500
	s_sub_i32 s0, s0, s4
	v_cvt_f64_f32_e32 v[12:13], v6
	v_add_u32_e32 v1, s0, v1
	v_mul_f64 v[12:13], v[12:13], s[2:3]
	global_store_dword v[0:1], v2, off
	v_and_or_b32 v2, v13, s7, v12
	v_cmp_ne_u32_e32 vcc, 0, v2
	v_lshrrev_b32_e32 v6, 8, v13
	v_bfe_u32 v8, v13, 20, 11
	v_cndmask_b32_e64 v2, 0, 1, vcc
	v_and_or_b32 v2, v6, s8, v2
	v_sub_u32_e32 v10, 0x3f1, v8
	v_or_b32_e32 v6, 0x1000, v2
	v_med3_i32 v10, v10, 0, 13
	v_lshrrev_b32_e32 v12, v10, v6
	v_lshlrev_b32_e32 v10, v10, v12
	v_cmp_ne_u32_e32 vcc, v10, v6
	v_add_u32_e32 v8, 0xfffffc10, v8
	v_lshl_or_b32 v10, v8, 12, v2
	v_cndmask_b32_e64 v6, 0, 1, vcc
	v_or_b32_e32 v6, v12, v6
	v_cmp_gt_i32_e32 vcc, 1, v8
	v_mul_f16_sdwa v3, v51, v3 dst_sel:DWORD dst_unused:UNUSED_PAD src0_sel:WORD_1 src1_sel:DWORD
	v_fma_f16 v3, v51, v4, -v3
	v_cndmask_b32_e32 v6, v10, v6, vcc
	v_and_b32_e32 v10, 7, v6
	v_cmp_lt_i32_e32 vcc, 5, v10
	v_cmp_eq_u32_e64 s[0:1], 3, v10
	v_lshrrev_b32_e32 v6, 2, v6
	s_or_b64 vcc, s[0:1], vcc
	v_addc_co_u32_e32 v6, vcc, 0, v6, vcc
	v_cmp_gt_i32_e32 vcc, 31, v8
	v_cvt_f32_f16_e32 v3, v3
	s_nop 0
	v_cndmask_b32_e32 v6, v14, v6, vcc
	v_cmp_ne_u32_e32 vcc, 0, v2
	s_nop 1
	v_cndmask_b32_e64 v2, 0, 1, vcc
	v_lshl_or_b32 v2, v2, 9, v14
	v_cmp_eq_u32_e32 vcc, s9, v8
	s_nop 1
	v_cndmask_b32_e32 v4, v6, v2, vcc
	v_cvt_f64_f32_e32 v[2:3], v3
	v_mul_f64 v[2:3], v[2:3], s[2:3]
	v_and_or_b32 v2, v3, s7, v2
	v_cmp_ne_u32_e32 vcc, 0, v2
	v_lshrrev_b32_e32 v8, 8, v3
	v_bfe_u32 v10, v3, 20, 11
	v_cndmask_b32_e64 v2, 0, 1, vcc
	v_and_or_b32 v2, v8, s8, v2
	v_sub_u32_e32 v12, 0x3f1, v10
	v_or_b32_e32 v8, 0x1000, v2
	v_med3_i32 v12, v12, 0, 13
	v_and_b32_sdwa v6, v13, s10 dst_sel:DWORD dst_unused:UNUSED_PAD src0_sel:WORD_1 src1_sel:DWORD
	v_lshrrev_b32_e32 v13, v12, v8
	v_lshlrev_b32_e32 v12, v12, v13
	v_cmp_ne_u32_e32 vcc, v12, v8
	v_add_u32_e32 v10, 0xfffffc10, v10
	v_lshl_or_b32 v12, v10, 12, v2
	v_cndmask_b32_e64 v8, 0, 1, vcc
	v_or_b32_e32 v8, v13, v8
	v_cmp_gt_i32_e32 vcc, 1, v10
	v_lshrrev_b32_e32 v3, 16, v3
	s_nop 0
	v_cndmask_b32_e32 v8, v12, v8, vcc
	v_and_b32_e32 v12, 7, v8
	v_cmp_lt_i32_e32 vcc, 5, v12
	v_cmp_eq_u32_e64 s[0:1], 3, v12
	v_lshrrev_b32_e32 v8, 2, v8
	s_or_b64 vcc, s[0:1], vcc
	v_addc_co_u32_e32 v8, vcc, 0, v8, vcc
	v_cmp_gt_i32_e32 vcc, 31, v10
	v_mad_u64_u32 v[0:1], s[0:1], s4, v23, v[0:1]
	s_nop 0
	v_cndmask_b32_e32 v8, v14, v8, vcc
	v_cmp_ne_u32_e32 vcc, 0, v2
	v_add_u32_e32 v1, s11, v1
	s_nop 0
	v_cndmask_b32_e64 v2, 0, 1, vcc
	v_lshl_or_b32 v2, v2, 9, v14
	v_cmp_eq_u32_e32 vcc, s9, v10
	s_nop 1
	v_cndmask_b32_e32 v2, v8, v2, vcc
	v_and_or_b32 v2, v3, s10, v2
	v_bitop3_b32 v3, v6, s6, v4 bitop3:0xc8
	v_lshrrev_b32_e32 v4, 16, v5
	v_lshl_or_b32 v2, v2, 16, v3
	v_mul_f16_sdwa v3, v43, v4 dst_sel:DWORD dst_unused:UNUSED_PAD src0_sel:WORD_1 src1_sel:DWORD
	v_fma_f16 v3, v43, v5, v3
	v_cvt_f32_f16_e32 v3, v3
	global_store_dword v[0:1], v2, off
	v_mul_f16_sdwa v5, v43, v5 dst_sel:DWORD dst_unused:UNUSED_PAD src0_sel:WORD_1 src1_sel:DWORD
	v_fma_f16 v4, v43, v4, -v5
	v_cvt_f64_f32_e32 v[2:3], v3
	v_mul_f64 v[2:3], v[2:3], s[2:3]
	v_and_or_b32 v2, v3, s7, v2
	v_cmp_ne_u32_e32 vcc, 0, v2
	v_lshrrev_b32_e32 v6, 8, v3
	v_bfe_u32 v8, v3, 20, 11
	v_cndmask_b32_e64 v2, 0, 1, vcc
	v_and_or_b32 v2, v6, s8, v2
	v_sub_u32_e32 v10, 0x3f1, v8
	v_or_b32_e32 v6, 0x1000, v2
	v_med3_i32 v10, v10, 0, 13
	v_lshrrev_b32_e32 v12, v10, v6
	v_lshlrev_b32_e32 v10, v10, v12
	v_cmp_ne_u32_e32 vcc, v10, v6
	v_add_u32_e32 v8, 0xfffffc10, v8
	v_lshl_or_b32 v10, v8, 12, v2
	v_cndmask_b32_e64 v6, 0, 1, vcc
	v_or_b32_e32 v6, v12, v6
	v_cmp_gt_i32_e32 vcc, 1, v8
	v_cvt_f32_f16_e32 v4, v4
	s_nop 0
	v_cndmask_b32_e32 v6, v10, v6, vcc
	v_and_b32_e32 v10, 7, v6
	v_cmp_lt_i32_e32 vcc, 5, v10
	v_cmp_eq_u32_e64 s[0:1], 3, v10
	v_lshrrev_b32_e32 v6, 2, v6
	s_or_b64 vcc, s[0:1], vcc
	v_addc_co_u32_e32 v6, vcc, 0, v6, vcc
	v_cmp_gt_i32_e32 vcc, 31, v8
	s_nop 1
	v_cndmask_b32_e32 v6, v14, v6, vcc
	v_cmp_ne_u32_e32 vcc, 0, v2
	s_nop 1
	v_cndmask_b32_e64 v2, 0, 1, vcc
	v_lshl_or_b32 v2, v2, 9, v14
	v_cmp_eq_u32_e32 vcc, s9, v8
	s_nop 1
	v_cndmask_b32_e32 v5, v6, v2, vcc
	v_and_b32_sdwa v6, v3, s10 dst_sel:DWORD dst_unused:UNUSED_PAD src0_sel:WORD_1 src1_sel:DWORD
	v_cvt_f64_f32_e32 v[2:3], v4
	v_mul_f64 v[2:3], v[2:3], s[2:3]
	v_and_or_b32 v2, v3, s7, v2
	v_cmp_ne_u32_e32 vcc, 0, v2
	v_lshrrev_b32_e32 v4, 8, v3
	v_bfe_u32 v8, v3, 20, 11
	v_cndmask_b32_e64 v2, 0, 1, vcc
	v_and_or_b32 v2, v4, s8, v2
	v_sub_u32_e32 v10, 0x3f1, v8
	v_or_b32_e32 v4, 0x1000, v2
	v_med3_i32 v10, v10, 0, 13
	v_lshrrev_b32_e32 v12, v10, v4
	v_lshlrev_b32_e32 v10, v10, v12
	v_cmp_ne_u32_e32 vcc, v10, v4
	v_add_u32_e32 v8, 0xfffffc10, v8
	v_lshl_or_b32 v10, v8, 12, v2
	v_cndmask_b32_e64 v4, 0, 1, vcc
	v_or_b32_e32 v4, v12, v4
	v_cmp_gt_i32_e32 vcc, 1, v8
	v_lshrrev_b32_e32 v3, 16, v3
	s_nop 0
	v_cndmask_b32_e32 v4, v10, v4, vcc
	v_and_b32_e32 v10, 7, v4
	v_cmp_lt_i32_e32 vcc, 5, v10
	v_cmp_eq_u32_e64 s[0:1], 3, v10
	v_lshrrev_b32_e32 v4, 2, v4
	s_or_b64 vcc, s[0:1], vcc
	v_addc_co_u32_e32 v4, vcc, 0, v4, vcc
	v_cmp_gt_i32_e32 vcc, 31, v8
	v_mad_u64_u32 v[0:1], s[0:1], s4, v23, v[0:1]
	s_nop 0
	v_cndmask_b32_e32 v4, v14, v4, vcc
	v_cmp_ne_u32_e32 vcc, 0, v2
	v_add_u32_e32 v1, s11, v1
	s_nop 0
	v_cndmask_b32_e64 v2, 0, 1, vcc
	v_lshl_or_b32 v2, v2, 9, v14
	v_cmp_eq_u32_e32 vcc, s9, v8
	s_nop 1
	v_cndmask_b32_e32 v2, v4, v2, vcc
	v_and_or_b32 v2, v3, s10, v2
	v_bitop3_b32 v3, v6, s6, v5 bitop3:0xc8
	v_lshrrev_b32_e32 v4, 16, v7
	v_lshl_or_b32 v2, v2, 16, v3
	v_mul_f16_sdwa v3, v39, v4 dst_sel:DWORD dst_unused:UNUSED_PAD src0_sel:WORD_1 src1_sel:DWORD
	v_fma_f16 v3, v39, v7, v3
	v_cvt_f32_f16_e32 v3, v3
	global_store_dword v[0:1], v2, off
	v_mul_f16_sdwa v7, v39, v7 dst_sel:DWORD dst_unused:UNUSED_PAD src0_sel:WORD_1 src1_sel:DWORD
	v_fma_f16 v4, v39, v4, -v7
	v_cvt_f64_f32_e32 v[2:3], v3
	v_mul_f64 v[2:3], v[2:3], s[2:3]
	v_and_or_b32 v2, v3, s7, v2
	v_cmp_ne_u32_e32 vcc, 0, v2
	v_lshrrev_b32_e32 v5, 8, v3
	v_bfe_u32 v6, v3, 20, 11
	v_cndmask_b32_e64 v2, 0, 1, vcc
	v_and_or_b32 v2, v5, s8, v2
	v_sub_u32_e32 v8, 0x3f1, v6
	v_or_b32_e32 v5, 0x1000, v2
	v_med3_i32 v8, v8, 0, 13
	v_lshrrev_b32_e32 v10, v8, v5
	v_lshlrev_b32_e32 v8, v8, v10
	v_cmp_ne_u32_e32 vcc, v8, v5
	v_add_u32_e32 v6, 0xfffffc10, v6
	v_lshl_or_b32 v8, v6, 12, v2
	v_cndmask_b32_e64 v5, 0, 1, vcc
	v_or_b32_e32 v5, v10, v5
	v_cmp_gt_i32_e32 vcc, 1, v6
	v_cvt_f32_f16_e32 v4, v4
	s_nop 0
	v_cndmask_b32_e32 v5, v8, v5, vcc
	v_and_b32_e32 v8, 7, v5
	v_cmp_lt_i32_e32 vcc, 5, v8
	v_cmp_eq_u32_e64 s[0:1], 3, v8
	v_lshrrev_b32_e32 v5, 2, v5
	s_or_b64 vcc, s[0:1], vcc
	v_addc_co_u32_e32 v5, vcc, 0, v5, vcc
	v_cmp_gt_i32_e32 vcc, 31, v6
	s_nop 1
	v_cndmask_b32_e32 v5, v14, v5, vcc
	v_cmp_ne_u32_e32 vcc, 0, v2
	s_nop 1
	v_cndmask_b32_e64 v2, 0, 1, vcc
	v_lshl_or_b32 v2, v2, 9, v14
	v_cmp_eq_u32_e32 vcc, s9, v6
	v_and_b32_sdwa v6, v3, s10 dst_sel:DWORD dst_unused:UNUSED_PAD src0_sel:WORD_1 src1_sel:DWORD
	s_nop 0
	v_cndmask_b32_e32 v5, v5, v2, vcc
	v_cvt_f64_f32_e32 v[2:3], v4
	v_mul_f64 v[2:3], v[2:3], s[2:3]
	v_and_or_b32 v2, v3, s7, v2
	v_cmp_ne_u32_e32 vcc, 0, v2
	v_lshrrev_b32_e32 v4, 8, v3
	v_bfe_u32 v7, v3, 20, 11
	v_cndmask_b32_e64 v2, 0, 1, vcc
	v_and_or_b32 v2, v4, s8, v2
	v_sub_u32_e32 v8, 0x3f1, v7
	v_or_b32_e32 v4, 0x1000, v2
	v_med3_i32 v8, v8, 0, 13
	v_lshrrev_b32_e32 v10, v8, v4
	v_lshlrev_b32_e32 v8, v8, v10
	v_cmp_ne_u32_e32 vcc, v8, v4
	v_add_u32_e32 v7, 0xfffffc10, v7
	v_lshl_or_b32 v8, v7, 12, v2
	v_cndmask_b32_e64 v4, 0, 1, vcc
	v_or_b32_e32 v4, v10, v4
	v_cmp_gt_i32_e32 vcc, 1, v7
	v_lshrrev_b32_e32 v3, 16, v3
	s_nop 0
	v_cndmask_b32_e32 v4, v8, v4, vcc
	v_and_b32_e32 v8, 7, v4
	v_cmp_lt_i32_e32 vcc, 5, v8
	v_cmp_eq_u32_e64 s[0:1], 3, v8
	v_lshrrev_b32_e32 v4, 2, v4
	s_or_b64 vcc, s[0:1], vcc
	v_addc_co_u32_e32 v4, vcc, 0, v4, vcc
	v_cmp_gt_i32_e32 vcc, 31, v7
	v_mad_u64_u32 v[0:1], s[0:1], s4, v23, v[0:1]
	s_nop 0
	v_cndmask_b32_e32 v4, v14, v4, vcc
	v_cmp_ne_u32_e32 vcc, 0, v2
	v_add_u32_e32 v1, s11, v1
	s_nop 0
	v_cndmask_b32_e64 v2, 0, 1, vcc
	v_lshl_or_b32 v2, v2, 9, v14
	v_cmp_eq_u32_e32 vcc, s9, v7
	s_nop 1
	v_cndmask_b32_e32 v2, v4, v2, vcc
	v_and_or_b32 v2, v3, s10, v2
	v_bitop3_b32 v3, v6, s6, v5 bitop3:0xc8
	v_lshrrev_b32_e32 v4, 16, v9
	v_lshl_or_b32 v2, v2, 16, v3
	v_mul_f16_sdwa v3, v35, v4 dst_sel:DWORD dst_unused:UNUSED_PAD src0_sel:WORD_1 src1_sel:DWORD
	v_fma_f16 v3, v35, v9, v3
	v_cvt_f32_f16_e32 v3, v3
	global_store_dword v[0:1], v2, off
	v_cvt_f64_f32_e32 v[2:3], v3
	v_mul_f64 v[2:3], v[2:3], s[2:3]
	v_and_or_b32 v2, v3, s7, v2
	v_cmp_ne_u32_e32 vcc, 0, v2
	v_lshrrev_b32_e32 v5, 8, v3
	v_bfe_u32 v6, v3, 20, 11
	v_cndmask_b32_e64 v2, 0, 1, vcc
	v_and_or_b32 v2, v5, s8, v2
	v_sub_u32_e32 v7, 0x3f1, v6
	v_or_b32_e32 v5, 0x1000, v2
	v_med3_i32 v7, v7, 0, 13
	v_lshrrev_b32_e32 v8, v7, v5
	v_lshlrev_b32_e32 v7, v7, v8
	v_cmp_ne_u32_e32 vcc, v7, v5
	v_add_u32_e32 v6, 0xfffffc10, v6
	v_lshl_or_b32 v7, v6, 12, v2
	v_cndmask_b32_e64 v5, 0, 1, vcc
	v_or_b32_e32 v5, v8, v5
	v_cmp_gt_i32_e32 vcc, 1, v6
	s_nop 1
	v_cndmask_b32_e32 v5, v7, v5, vcc
	v_and_b32_e32 v7, 7, v5
	v_cmp_lt_i32_e32 vcc, 5, v7
	v_cmp_eq_u32_e64 s[0:1], 3, v7
	v_lshrrev_b32_e32 v5, 2, v5
	s_or_b64 vcc, s[0:1], vcc
	v_mul_f16_sdwa v7, v35, v9 dst_sel:DWORD dst_unused:UNUSED_PAD src0_sel:WORD_1 src1_sel:DWORD
	v_addc_co_u32_e32 v5, vcc, 0, v5, vcc
	v_fma_f16 v4, v35, v4, -v7
	v_cmp_gt_i32_e32 vcc, 31, v6
	v_cvt_f32_f16_e32 v4, v4
	s_nop 0
	v_cndmask_b32_e32 v5, v14, v5, vcc
	v_cmp_ne_u32_e32 vcc, 0, v2
	s_nop 1
	v_cndmask_b32_e64 v2, 0, 1, vcc
	v_lshl_or_b32 v2, v2, 9, v14
	v_cmp_eq_u32_e32 vcc, s9, v6
	v_and_b32_sdwa v6, v3, s10 dst_sel:DWORD dst_unused:UNUSED_PAD src0_sel:WORD_1 src1_sel:DWORD
	s_nop 0
	v_cndmask_b32_e32 v5, v5, v2, vcc
	v_cvt_f64_f32_e32 v[2:3], v4
	v_mul_f64 v[2:3], v[2:3], s[2:3]
	v_and_or_b32 v2, v3, s7, v2
	v_cmp_ne_u32_e32 vcc, 0, v2
	v_lshrrev_b32_e32 v4, 8, v3
	v_bfe_u32 v7, v3, 20, 11
	v_cndmask_b32_e64 v2, 0, 1, vcc
	v_and_or_b32 v2, v4, s8, v2
	v_sub_u32_e32 v8, 0x3f1, v7
	v_or_b32_e32 v4, 0x1000, v2
	v_med3_i32 v8, v8, 0, 13
	v_lshrrev_b32_e32 v9, v8, v4
	v_lshlrev_b32_e32 v8, v8, v9
	v_cmp_ne_u32_e32 vcc, v8, v4
	v_add_u32_e32 v7, 0xfffffc10, v7
	v_lshl_or_b32 v8, v7, 12, v2
	v_cndmask_b32_e64 v4, 0, 1, vcc
	v_or_b32_e32 v4, v9, v4
	v_cmp_gt_i32_e32 vcc, 1, v7
	v_lshrrev_b32_e32 v3, 16, v3
	s_nop 0
	v_cndmask_b32_e32 v4, v8, v4, vcc
	v_and_b32_e32 v8, 7, v4
	v_cmp_lt_i32_e32 vcc, 5, v8
	v_cmp_eq_u32_e64 s[0:1], 3, v8
	v_lshrrev_b32_e32 v4, 2, v4
	s_or_b64 vcc, s[0:1], vcc
	v_addc_co_u32_e32 v4, vcc, 0, v4, vcc
	v_cmp_gt_i32_e32 vcc, 31, v7
	v_mad_u64_u32 v[0:1], s[0:1], s4, v23, v[0:1]
	s_nop 0
	v_cndmask_b32_e32 v4, v14, v4, vcc
	v_cmp_ne_u32_e32 vcc, 0, v2
	v_add_u32_e32 v1, s11, v1
	s_nop 0
	v_cndmask_b32_e64 v2, 0, 1, vcc
	v_lshl_or_b32 v2, v2, 9, v14
	v_cmp_eq_u32_e32 vcc, s9, v7
	s_nop 1
	v_cndmask_b32_e32 v2, v4, v2, vcc
	v_and_or_b32 v2, v3, s10, v2
	v_bitop3_b32 v3, v6, s6, v5 bitop3:0xc8
	v_lshrrev_b32_e32 v4, 16, v11
	v_lshl_or_b32 v2, v2, 16, v3
	v_mul_f16_sdwa v3, v31, v4 dst_sel:DWORD dst_unused:UNUSED_PAD src0_sel:WORD_1 src1_sel:DWORD
	v_fma_f16 v3, v31, v11, v3
	v_cvt_f32_f16_e32 v3, v3
	global_store_dword v[0:1], v2, off
	v_cvt_f64_f32_e32 v[2:3], v3
	v_mul_f64 v[2:3], v[2:3], s[2:3]
	v_and_or_b32 v2, v3, s7, v2
	v_cmp_ne_u32_e32 vcc, 0, v2
	v_lshrrev_b32_e32 v5, 8, v3
	v_bfe_u32 v6, v3, 20, 11
	v_cndmask_b32_e64 v2, 0, 1, vcc
	v_and_or_b32 v2, v5, s8, v2
	v_sub_u32_e32 v7, 0x3f1, v6
	v_or_b32_e32 v5, 0x1000, v2
	v_med3_i32 v7, v7, 0, 13
	v_lshrrev_b32_e32 v8, v7, v5
	v_lshlrev_b32_e32 v7, v7, v8
	v_cmp_ne_u32_e32 vcc, v7, v5
	v_add_u32_e32 v6, 0xfffffc10, v6
	v_lshl_or_b32 v7, v6, 12, v2
	v_cndmask_b32_e64 v5, 0, 1, vcc
	v_or_b32_e32 v5, v8, v5
	v_cmp_gt_i32_e32 vcc, 1, v6
	s_nop 1
	v_cndmask_b32_e32 v5, v7, v5, vcc
	v_and_b32_e32 v7, 7, v5
	v_cmp_lt_i32_e32 vcc, 5, v7
	v_cmp_eq_u32_e64 s[0:1], 3, v7
	v_lshrrev_b32_e32 v5, 2, v5
	s_or_b64 vcc, s[0:1], vcc
	v_mul_f16_sdwa v7, v31, v11 dst_sel:DWORD dst_unused:UNUSED_PAD src0_sel:WORD_1 src1_sel:DWORD
	v_addc_co_u32_e32 v5, vcc, 0, v5, vcc
	v_fma_f16 v4, v31, v4, -v7
	v_cmp_gt_i32_e32 vcc, 31, v6
	v_cvt_f32_f16_e32 v4, v4
	s_nop 0
	v_cndmask_b32_e32 v5, v14, v5, vcc
	v_cmp_ne_u32_e32 vcc, 0, v2
	s_nop 1
	v_cndmask_b32_e64 v2, 0, 1, vcc
	v_lshl_or_b32 v2, v2, 9, v14
	v_cmp_eq_u32_e32 vcc, s9, v6
	v_and_b32_sdwa v6, v3, s10 dst_sel:DWORD dst_unused:UNUSED_PAD src0_sel:WORD_1 src1_sel:DWORD
	s_nop 0
	v_cndmask_b32_e32 v5, v5, v2, vcc
	v_cvt_f64_f32_e32 v[2:3], v4
	v_mul_f64 v[2:3], v[2:3], s[2:3]
	v_and_or_b32 v2, v3, s7, v2
	v_cmp_ne_u32_e32 vcc, 0, v2
	v_lshrrev_b32_e32 v4, 8, v3
	v_bfe_u32 v7, v3, 20, 11
	v_cndmask_b32_e64 v2, 0, 1, vcc
	v_and_or_b32 v2, v4, s8, v2
	v_sub_u32_e32 v8, 0x3f1, v7
	v_or_b32_e32 v4, 0x1000, v2
	v_med3_i32 v8, v8, 0, 13
	v_lshrrev_b32_e32 v9, v8, v4
	v_lshlrev_b32_e32 v8, v8, v9
	v_cmp_ne_u32_e32 vcc, v8, v4
	v_add_u32_e32 v7, 0xfffffc10, v7
	v_lshl_or_b32 v8, v7, 12, v2
	v_cndmask_b32_e64 v4, 0, 1, vcc
	v_or_b32_e32 v4, v9, v4
	v_cmp_gt_i32_e32 vcc, 1, v7
	v_lshrrev_b32_e32 v3, 16, v3
	s_nop 0
	v_cndmask_b32_e32 v4, v8, v4, vcc
	v_and_b32_e32 v8, 7, v4
	v_cmp_lt_i32_e32 vcc, 5, v8
	v_cmp_eq_u32_e64 s[0:1], 3, v8
	v_lshrrev_b32_e32 v4, 2, v4
	s_or_b64 vcc, s[0:1], vcc
	v_addc_co_u32_e32 v4, vcc, 0, v4, vcc
	v_cmp_gt_i32_e32 vcc, 31, v7
	v_mad_u64_u32 v[0:1], s[0:1], s4, v23, v[0:1]
	s_nop 0
	v_cndmask_b32_e32 v4, v14, v4, vcc
	v_cmp_ne_u32_e32 vcc, 0, v2
	v_add_u32_e32 v1, s11, v1
	s_nop 0
	v_cndmask_b32_e64 v2, 0, 1, vcc
	v_lshl_or_b32 v2, v2, 9, v14
	v_cmp_eq_u32_e32 vcc, s9, v7
	s_nop 1
	v_cndmask_b32_e32 v2, v4, v2, vcc
	v_and_or_b32 v2, v3, s10, v2
	v_bitop3_b32 v3, v6, s6, v5 bitop3:0xc8
	v_lshl_or_b32 v2, v2, 16, v3
	global_store_dword v[0:1], v2, off
.LBB0_2:
	s_endpgm
	.section	.rodata,"a",@progbits
	.p2align	6, 0x0
	.amdhsa_kernel bluestein_single_fwd_len2304_dim1_half_op_CI_CI
		.amdhsa_group_segment_fixed_size 9216
		.amdhsa_private_segment_fixed_size 0
		.amdhsa_kernarg_size 104
		.amdhsa_user_sgpr_count 2
		.amdhsa_user_sgpr_dispatch_ptr 0
		.amdhsa_user_sgpr_queue_ptr 0
		.amdhsa_user_sgpr_kernarg_segment_ptr 1
		.amdhsa_user_sgpr_dispatch_id 0
		.amdhsa_user_sgpr_kernarg_preload_length 0
		.amdhsa_user_sgpr_kernarg_preload_offset 0
		.amdhsa_user_sgpr_private_segment_size 0
		.amdhsa_uses_dynamic_stack 0
		.amdhsa_enable_private_segment 0
		.amdhsa_system_sgpr_workgroup_id_x 1
		.amdhsa_system_sgpr_workgroup_id_y 0
		.amdhsa_system_sgpr_workgroup_id_z 0
		.amdhsa_system_sgpr_workgroup_info 0
		.amdhsa_system_vgpr_workitem_id 0
		.amdhsa_next_free_vgpr 93
		.amdhsa_next_free_sgpr 20
		.amdhsa_accum_offset 96
		.amdhsa_reserve_vcc 1
		.amdhsa_float_round_mode_32 0
		.amdhsa_float_round_mode_16_64 0
		.amdhsa_float_denorm_mode_32 3
		.amdhsa_float_denorm_mode_16_64 3
		.amdhsa_dx10_clamp 1
		.amdhsa_ieee_mode 1
		.amdhsa_fp16_overflow 0
		.amdhsa_tg_split 0
		.amdhsa_exception_fp_ieee_invalid_op 0
		.amdhsa_exception_fp_denorm_src 0
		.amdhsa_exception_fp_ieee_div_zero 0
		.amdhsa_exception_fp_ieee_overflow 0
		.amdhsa_exception_fp_ieee_underflow 0
		.amdhsa_exception_fp_ieee_inexact 0
		.amdhsa_exception_int_div_zero 0
	.end_amdhsa_kernel
	.text
.Lfunc_end0:
	.size	bluestein_single_fwd_len2304_dim1_half_op_CI_CI, .Lfunc_end0-bluestein_single_fwd_len2304_dim1_half_op_CI_CI
                                        ; -- End function
	.section	.AMDGPU.csdata,"",@progbits
; Kernel info:
; codeLenInByte = 17916
; NumSgprs: 26
; NumVgprs: 93
; NumAgprs: 0
; TotalNumVgprs: 93
; ScratchSize: 0
; MemoryBound: 0
; FloatMode: 240
; IeeeMode: 1
; LDSByteSize: 9216 bytes/workgroup (compile time only)
; SGPRBlocks: 3
; VGPRBlocks: 11
; NumSGPRsForWavesPerEU: 26
; NumVGPRsForWavesPerEU: 93
; AccumOffset: 96
; Occupancy: 5
; WaveLimiterHint : 1
; COMPUTE_PGM_RSRC2:SCRATCH_EN: 0
; COMPUTE_PGM_RSRC2:USER_SGPR: 2
; COMPUTE_PGM_RSRC2:TRAP_HANDLER: 0
; COMPUTE_PGM_RSRC2:TGID_X_EN: 1
; COMPUTE_PGM_RSRC2:TGID_Y_EN: 0
; COMPUTE_PGM_RSRC2:TGID_Z_EN: 0
; COMPUTE_PGM_RSRC2:TIDIG_COMP_CNT: 0
; COMPUTE_PGM_RSRC3_GFX90A:ACCUM_OFFSET: 23
; COMPUTE_PGM_RSRC3_GFX90A:TG_SPLIT: 0
	.text
	.p2alignl 6, 3212836864
	.fill 256, 4, 3212836864
	.type	__hip_cuid_5d514ed44eb09573,@object ; @__hip_cuid_5d514ed44eb09573
	.section	.bss,"aw",@nobits
	.globl	__hip_cuid_5d514ed44eb09573
__hip_cuid_5d514ed44eb09573:
	.byte	0                               ; 0x0
	.size	__hip_cuid_5d514ed44eb09573, 1

	.ident	"AMD clang version 19.0.0git (https://github.com/RadeonOpenCompute/llvm-project roc-6.4.0 25133 c7fe45cf4b819c5991fe208aaa96edf142730f1d)"
	.section	".note.GNU-stack","",@progbits
	.addrsig
	.addrsig_sym __hip_cuid_5d514ed44eb09573
	.amdgpu_metadata
---
amdhsa.kernels:
  - .agpr_count:     0
    .args:
      - .actual_access:  read_only
        .address_space:  global
        .offset:         0
        .size:           8
        .value_kind:     global_buffer
      - .actual_access:  read_only
        .address_space:  global
        .offset:         8
        .size:           8
        .value_kind:     global_buffer
      - .actual_access:  read_only
        .address_space:  global
        .offset:         16
        .size:           8
        .value_kind:     global_buffer
      - .actual_access:  read_only
        .address_space:  global
        .offset:         24
        .size:           8
        .value_kind:     global_buffer
      - .actual_access:  read_only
        .address_space:  global
        .offset:         32
        .size:           8
        .value_kind:     global_buffer
      - .offset:         40
        .size:           8
        .value_kind:     by_value
      - .address_space:  global
        .offset:         48
        .size:           8
        .value_kind:     global_buffer
      - .address_space:  global
        .offset:         56
        .size:           8
        .value_kind:     global_buffer
      - .address_space:  global
        .offset:         64
        .size:           8
        .value_kind:     global_buffer
      - .address_space:  global
        .offset:         72
        .size:           8
        .value_kind:     global_buffer
      - .offset:         80
        .size:           4
        .value_kind:     by_value
      - .address_space:  global
        .offset:         88
        .size:           8
        .value_kind:     global_buffer
      - .address_space:  global
        .offset:         96
        .size:           8
        .value_kind:     global_buffer
    .group_segment_fixed_size: 9216
    .kernarg_segment_align: 8
    .kernarg_segment_size: 104
    .language:       OpenCL C
    .language_version:
      - 2
      - 0
    .max_flat_workgroup_size: 192
    .name:           bluestein_single_fwd_len2304_dim1_half_op_CI_CI
    .private_segment_fixed_size: 0
    .sgpr_count:     26
    .sgpr_spill_count: 0
    .symbol:         bluestein_single_fwd_len2304_dim1_half_op_CI_CI.kd
    .uniform_work_group_size: 1
    .uses_dynamic_stack: false
    .vgpr_count:     93
    .vgpr_spill_count: 0
    .wavefront_size: 64
amdhsa.target:   amdgcn-amd-amdhsa--gfx950
amdhsa.version:
  - 1
  - 2
...

	.end_amdgpu_metadata
